;; amdgpu-corpus repo=ROCm/rocFFT kind=compiled arch=gfx1030 opt=O3
	.text
	.amdgcn_target "amdgcn-amd-amdhsa--gfx1030"
	.amdhsa_code_object_version 6
	.protected	fft_rtc_fwd_len2160_factors_10_6_6_6_wgs_60_tpt_60_halfLds_sp_ip_CI_unitstride_sbrr_R2C_dirReg ; -- Begin function fft_rtc_fwd_len2160_factors_10_6_6_6_wgs_60_tpt_60_halfLds_sp_ip_CI_unitstride_sbrr_R2C_dirReg
	.globl	fft_rtc_fwd_len2160_factors_10_6_6_6_wgs_60_tpt_60_halfLds_sp_ip_CI_unitstride_sbrr_R2C_dirReg
	.p2align	8
	.type	fft_rtc_fwd_len2160_factors_10_6_6_6_wgs_60_tpt_60_halfLds_sp_ip_CI_unitstride_sbrr_R2C_dirReg,@function
fft_rtc_fwd_len2160_factors_10_6_6_6_wgs_60_tpt_60_halfLds_sp_ip_CI_unitstride_sbrr_R2C_dirReg: ; @fft_rtc_fwd_len2160_factors_10_6_6_6_wgs_60_tpt_60_halfLds_sp_ip_CI_unitstride_sbrr_R2C_dirReg
; %bb.0:
	s_clause 0x2
	s_load_dwordx4 s[8:11], s[4:5], 0x0
	s_load_dwordx2 s[2:3], s[4:5], 0x50
	s_load_dwordx2 s[12:13], s[4:5], 0x18
	v_mul_u32_u24_e32 v1, 0x445, v0
	v_mov_b32_e32 v3, 0
	v_add_nc_u32_sdwa v5, s6, v1 dst_sel:DWORD dst_unused:UNUSED_PAD src0_sel:DWORD src1_sel:WORD_1
	v_mov_b32_e32 v1, 0
	v_mov_b32_e32 v6, v3
	v_mov_b32_e32 v2, 0
	s_waitcnt lgkmcnt(0)
	v_cmp_lt_u64_e64 s0, s[10:11], 2
	s_and_b32 vcc_lo, exec_lo, s0
	s_cbranch_vccnz .LBB0_8
; %bb.1:
	s_load_dwordx2 s[0:1], s[4:5], 0x10
	v_mov_b32_e32 v1, 0
	s_add_u32 s6, s12, 8
	v_mov_b32_e32 v2, 0
	s_addc_u32 s7, s13, 0
	s_mov_b64 s[16:17], 1
	s_waitcnt lgkmcnt(0)
	s_add_u32 s14, s0, 8
	s_addc_u32 s15, s1, 0
.LBB0_2:                                ; =>This Inner Loop Header: Depth=1
	s_load_dwordx2 s[18:19], s[14:15], 0x0
                                        ; implicit-def: $vgpr7_vgpr8
	s_mov_b32 s0, exec_lo
	s_waitcnt lgkmcnt(0)
	v_or_b32_e32 v4, s19, v6
	v_cmpx_ne_u64_e32 0, v[3:4]
	s_xor_b32 s1, exec_lo, s0
	s_cbranch_execz .LBB0_4
; %bb.3:                                ;   in Loop: Header=BB0_2 Depth=1
	v_cvt_f32_u32_e32 v4, s18
	v_cvt_f32_u32_e32 v7, s19
	s_sub_u32 s0, 0, s18
	s_subb_u32 s20, 0, s19
	v_fmac_f32_e32 v4, 0x4f800000, v7
	v_rcp_f32_e32 v4, v4
	v_mul_f32_e32 v4, 0x5f7ffffc, v4
	v_mul_f32_e32 v7, 0x2f800000, v4
	v_trunc_f32_e32 v7, v7
	v_fmac_f32_e32 v4, 0xcf800000, v7
	v_cvt_u32_f32_e32 v7, v7
	v_cvt_u32_f32_e32 v4, v4
	v_mul_lo_u32 v8, s0, v7
	v_mul_hi_u32 v9, s0, v4
	v_mul_lo_u32 v10, s20, v4
	v_add_nc_u32_e32 v8, v9, v8
	v_mul_lo_u32 v9, s0, v4
	v_add_nc_u32_e32 v8, v8, v10
	v_mul_hi_u32 v10, v4, v9
	v_mul_lo_u32 v11, v4, v8
	v_mul_hi_u32 v12, v4, v8
	v_mul_hi_u32 v13, v7, v9
	v_mul_lo_u32 v9, v7, v9
	v_mul_hi_u32 v14, v7, v8
	v_mul_lo_u32 v8, v7, v8
	v_add_co_u32 v10, vcc_lo, v10, v11
	v_add_co_ci_u32_e32 v11, vcc_lo, 0, v12, vcc_lo
	v_add_co_u32 v9, vcc_lo, v10, v9
	v_add_co_ci_u32_e32 v9, vcc_lo, v11, v13, vcc_lo
	v_add_co_ci_u32_e32 v10, vcc_lo, 0, v14, vcc_lo
	v_add_co_u32 v8, vcc_lo, v9, v8
	v_add_co_ci_u32_e32 v9, vcc_lo, 0, v10, vcc_lo
	v_add_co_u32 v4, vcc_lo, v4, v8
	v_add_co_ci_u32_e32 v7, vcc_lo, v7, v9, vcc_lo
	v_mul_hi_u32 v8, s0, v4
	v_mul_lo_u32 v10, s20, v4
	v_mul_lo_u32 v9, s0, v7
	v_add_nc_u32_e32 v8, v8, v9
	v_mul_lo_u32 v9, s0, v4
	v_add_nc_u32_e32 v8, v8, v10
	v_mul_hi_u32 v10, v4, v9
	v_mul_lo_u32 v11, v4, v8
	v_mul_hi_u32 v12, v4, v8
	v_mul_hi_u32 v13, v7, v9
	v_mul_lo_u32 v9, v7, v9
	v_mul_hi_u32 v14, v7, v8
	v_mul_lo_u32 v8, v7, v8
	v_add_co_u32 v10, vcc_lo, v10, v11
	v_add_co_ci_u32_e32 v11, vcc_lo, 0, v12, vcc_lo
	v_add_co_u32 v9, vcc_lo, v10, v9
	v_add_co_ci_u32_e32 v9, vcc_lo, v11, v13, vcc_lo
	v_add_co_ci_u32_e32 v10, vcc_lo, 0, v14, vcc_lo
	v_add_co_u32 v8, vcc_lo, v9, v8
	v_add_co_ci_u32_e32 v9, vcc_lo, 0, v10, vcc_lo
	v_add_co_u32 v4, vcc_lo, v4, v8
	v_add_co_ci_u32_e32 v11, vcc_lo, v7, v9, vcc_lo
	v_mul_hi_u32 v13, v5, v4
	v_mad_u64_u32 v[9:10], null, v6, v4, 0
	v_mad_u64_u32 v[7:8], null, v5, v11, 0
	;; [unrolled: 1-line block ×3, first 2 shown]
	v_add_co_u32 v4, vcc_lo, v13, v7
	v_add_co_ci_u32_e32 v7, vcc_lo, 0, v8, vcc_lo
	v_add_co_u32 v4, vcc_lo, v4, v9
	v_add_co_ci_u32_e32 v4, vcc_lo, v7, v10, vcc_lo
	v_add_co_ci_u32_e32 v7, vcc_lo, 0, v12, vcc_lo
	v_add_co_u32 v4, vcc_lo, v4, v11
	v_add_co_ci_u32_e32 v9, vcc_lo, 0, v7, vcc_lo
	v_mul_lo_u32 v10, s19, v4
	v_mad_u64_u32 v[7:8], null, s18, v4, 0
	v_mul_lo_u32 v11, s18, v9
	v_sub_co_u32 v7, vcc_lo, v5, v7
	v_add3_u32 v8, v8, v11, v10
	v_sub_nc_u32_e32 v10, v6, v8
	v_subrev_co_ci_u32_e64 v10, s0, s19, v10, vcc_lo
	v_add_co_u32 v11, s0, v4, 2
	v_add_co_ci_u32_e64 v12, s0, 0, v9, s0
	v_sub_co_u32 v13, s0, v7, s18
	v_sub_co_ci_u32_e32 v8, vcc_lo, v6, v8, vcc_lo
	v_subrev_co_ci_u32_e64 v10, s0, 0, v10, s0
	v_cmp_le_u32_e32 vcc_lo, s18, v13
	v_cmp_eq_u32_e64 s0, s19, v8
	v_cndmask_b32_e64 v13, 0, -1, vcc_lo
	v_cmp_le_u32_e32 vcc_lo, s19, v10
	v_cndmask_b32_e64 v14, 0, -1, vcc_lo
	v_cmp_le_u32_e32 vcc_lo, s18, v7
	;; [unrolled: 2-line block ×3, first 2 shown]
	v_cndmask_b32_e64 v15, 0, -1, vcc_lo
	v_cmp_eq_u32_e32 vcc_lo, s19, v10
	v_cndmask_b32_e64 v7, v15, v7, s0
	v_cndmask_b32_e32 v10, v14, v13, vcc_lo
	v_add_co_u32 v13, vcc_lo, v4, 1
	v_add_co_ci_u32_e32 v14, vcc_lo, 0, v9, vcc_lo
	v_cmp_ne_u32_e32 vcc_lo, 0, v10
	v_cndmask_b32_e32 v8, v14, v12, vcc_lo
	v_cndmask_b32_e32 v10, v13, v11, vcc_lo
	v_cmp_ne_u32_e32 vcc_lo, 0, v7
	v_cndmask_b32_e32 v8, v9, v8, vcc_lo
	v_cndmask_b32_e32 v7, v4, v10, vcc_lo
.LBB0_4:                                ;   in Loop: Header=BB0_2 Depth=1
	s_andn2_saveexec_b32 s0, s1
	s_cbranch_execz .LBB0_6
; %bb.5:                                ;   in Loop: Header=BB0_2 Depth=1
	v_cvt_f32_u32_e32 v4, s18
	s_sub_i32 s1, 0, s18
	v_rcp_iflag_f32_e32 v4, v4
	v_mul_f32_e32 v4, 0x4f7ffffe, v4
	v_cvt_u32_f32_e32 v4, v4
	v_mul_lo_u32 v7, s1, v4
	v_mul_hi_u32 v7, v4, v7
	v_add_nc_u32_e32 v4, v4, v7
	v_mul_hi_u32 v4, v5, v4
	v_mul_lo_u32 v7, v4, s18
	v_add_nc_u32_e32 v8, 1, v4
	v_sub_nc_u32_e32 v7, v5, v7
	v_subrev_nc_u32_e32 v9, s18, v7
	v_cmp_le_u32_e32 vcc_lo, s18, v7
	v_cndmask_b32_e32 v7, v7, v9, vcc_lo
	v_cndmask_b32_e32 v4, v4, v8, vcc_lo
	v_cmp_le_u32_e32 vcc_lo, s18, v7
	v_add_nc_u32_e32 v8, 1, v4
	v_cndmask_b32_e32 v7, v4, v8, vcc_lo
	v_mov_b32_e32 v8, v3
.LBB0_6:                                ;   in Loop: Header=BB0_2 Depth=1
	s_or_b32 exec_lo, exec_lo, s0
	s_load_dwordx2 s[0:1], s[6:7], 0x0
	v_mul_lo_u32 v4, v8, s18
	v_mul_lo_u32 v11, v7, s19
	v_mad_u64_u32 v[9:10], null, v7, s18, 0
	s_add_u32 s16, s16, 1
	s_addc_u32 s17, s17, 0
	s_add_u32 s6, s6, 8
	s_addc_u32 s7, s7, 0
	;; [unrolled: 2-line block ×3, first 2 shown]
	v_add3_u32 v4, v10, v11, v4
	v_sub_co_u32 v5, vcc_lo, v5, v9
	v_sub_co_ci_u32_e32 v4, vcc_lo, v6, v4, vcc_lo
	s_waitcnt lgkmcnt(0)
	v_mul_lo_u32 v6, s1, v5
	v_mul_lo_u32 v4, s0, v4
	v_mad_u64_u32 v[1:2], null, s0, v5, v[1:2]
	v_cmp_ge_u64_e64 s0, s[16:17], s[10:11]
	s_and_b32 vcc_lo, exec_lo, s0
	v_add3_u32 v2, v6, v2, v4
	s_cbranch_vccnz .LBB0_9
; %bb.7:                                ;   in Loop: Header=BB0_2 Depth=1
	v_mov_b32_e32 v5, v7
	v_mov_b32_e32 v6, v8
	s_branch .LBB0_2
.LBB0_8:
	v_mov_b32_e32 v8, v6
	v_mov_b32_e32 v7, v5
.LBB0_9:
	s_lshl_b64 s[0:1], s[10:11], 3
	v_mul_hi_u32 v3, 0x4444445, v0
	s_add_u32 s0, s12, s0
	s_addc_u32 s1, s13, s1
	s_load_dwordx2 s[4:5], s[4:5], 0x20
	s_load_dwordx2 s[0:1], s[0:1], 0x0
	v_mul_u32_u24_e32 v3, 60, v3
	v_sub_nc_u32_e32 v80, v0, v3
	v_add_nc_u32_e32 v82, 60, v80
	v_add_nc_u32_e32 v91, 0x78, v80
	;; [unrolled: 1-line block ×3, first 2 shown]
	s_waitcnt lgkmcnt(0)
	v_cmp_gt_u64_e32 vcc_lo, s[4:5], v[7:8]
	v_mul_lo_u32 v3, s0, v8
	v_mul_lo_u32 v4, s1, v7
	v_mad_u64_u32 v[0:1], null, s0, v7, v[1:2]
	v_cmp_le_u64_e64 s0, s[4:5], v[7:8]
	v_add3_u32 v1, v4, v1, v3
	s_and_saveexec_b32 s1, s0
	s_xor_b32 s0, exec_lo, s1
; %bb.10:
	v_add_nc_u32_e32 v82, 60, v80
	v_add_nc_u32_e32 v91, 0x78, v80
	;; [unrolled: 1-line block ×3, first 2 shown]
; %bb.11:
	s_or_saveexec_b32 s1, s0
	v_lshlrev_b64 v[86:87], 3, v[0:1]
	v_lshl_add_u32 v93, v80, 3, 0
	v_or_b32_e32 v88, 0x3c0, v80
	v_or_b32_e32 v84, 0x780, v80
	s_xor_b32 exec_lo, exec_lo, s1
	s_cbranch_execz .LBB0_13
; %bb.12:
	v_mov_b32_e32 v81, 0
	v_add_co_u32 v40, s0, s2, v86
	v_add_co_ci_u32_e64 v41, s0, s3, v87, s0
	v_lshlrev_b64 v[0:1], 3, v[80:81]
	v_mov_b32_e32 v89, v81
	v_mov_b32_e32 v85, v81
	v_add_nc_u32_e32 v72, 0x400, v93
	v_add_nc_u32_e32 v73, 0x800, v93
	;; [unrolled: 1-line block ×3, first 2 shown]
	v_add_co_u32 v0, s0, v40, v0
	v_add_co_ci_u32_e64 v1, s0, v41, v1, s0
	v_lshlrev_b64 v[22:23], 3, v[88:89]
	v_add_co_u32 v2, s0, 0x800, v0
	v_add_co_ci_u32_e64 v3, s0, 0, v1, s0
	v_add_co_u32 v4, s0, 0x1000, v0
	v_add_co_ci_u32_e64 v5, s0, 0, v1, s0
	;; [unrolled: 2-line block ×5, first 2 shown]
	v_lshlrev_b64 v[24:25], 3, v[84:85]
	v_add_co_u32 v36, s0, 0x2800, v0
	v_add_co_ci_u32_e64 v37, s0, 0, v1, s0
	v_add_co_u32 v38, s0, 0x3000, v0
	v_add_co_ci_u32_e64 v39, s0, 0, v1, s0
	;; [unrolled: 2-line block ×4, first 2 shown]
	s_clause 0xb
	global_load_dwordx2 v[6:7], v[0:1], off offset:1920
	global_load_dwordx2 v[8:9], v[2:3], off offset:352
	;; [unrolled: 1-line block ×8, first 2 shown]
	global_load_dwordx2 v[26:27], v[0:1], off
	global_load_dwordx2 v[28:29], v[0:1], off offset:480
	global_load_dwordx2 v[30:31], v[0:1], off offset:960
	;; [unrolled: 1-line block ×3, first 2 shown]
	v_add_co_u32 v0, s0, 0x4000, v0
	v_add_co_ci_u32_e64 v1, s0, 0, v1, s0
	s_clause 0x17
	global_load_dwordx2 v[4:5], v[4:5], off offset:1664
	global_load_dwordx2 v[42:43], v[14:15], off offset:96
	;; [unrolled: 1-line block ×6, first 2 shown]
	global_load_dwordx2 v[22:23], v[22:23], off
	global_load_dwordx2 v[14:15], v[14:15], off offset:2016
	global_load_dwordx2 v[52:53], v[34:35], off offset:1408
	;; [unrolled: 1-line block ×15, first 2 shown]
	global_load_dwordx2 v[24:25], v[24:25], off
	global_load_dwordx2 v[40:41], v[40:41], off offset:1984
	v_add_nc_u32_e32 v75, 0x1000, v93
	v_add_nc_u32_e32 v76, 0x1400, v93
	;; [unrolled: 1-line block ×8, first 2 shown]
	s_waitcnt vmcnt(26)
	ds_write2_b64 v93, v[26:27], v[28:29] offset1:60
	s_waitcnt vmcnt(24)
	ds_write2_b64 v93, v[30:31], v[32:33] offset0:120 offset1:180
	ds_write2_b64 v72, v[6:7], v[8:9] offset0:112 offset1:172
	;; [unrolled: 1-line block ×5, first 2 shown]
	s_waitcnt vmcnt(22)
	ds_write2_b64 v76, v[4:5], v[42:43] offset0:80 offset1:140
	s_waitcnt vmcnt(20)
	ds_write2_b64 v77, v[44:45], v[46:47] offset0:72 offset1:132
	;; [unrolled: 2-line block ×3, first 2 shown]
	ds_write2_b64 v78, v[50:51], v[48:49] offset0:56 offset1:116
	s_waitcnt vmcnt(14)
	ds_write2_b64 v78, v[52:53], v[34:35] offset0:176 offset1:236
	s_waitcnt vmcnt(12)
	;; [unrolled: 2-line block ×8, first 2 shown]
	ds_write2_b64 v85, v[40:41], v[0:1] offset0:120 offset1:180
.LBB0_13:
	s_or_b32 exec_lo, exec_lo, s1
	v_add_nc_u32_e32 v95, 0x800, v93
	v_add_nc_u32_e32 v81, 0x1800, v93
	;; [unrolled: 1-line block ×9, first 2 shown]
	s_waitcnt lgkmcnt(0)
	s_barrier
	buffer_gl0_inv
	ds_read2_b64 v[52:55], v95 offset0:176 offset1:236
	ds_read2_b64 v[76:79], v81 offset0:96 offset1:156
	;; [unrolled: 1-line block ×9, first 2 shown]
	ds_read2_b64 v[72:75], v93 offset1:60
	v_add_nc_u32_e32 v98, 0x1c00, v93
	s_mov_b32 s1, exec_lo
	s_waitcnt lgkmcnt(4)
	v_add_f32_e32 v15, v60, v8
	v_add_f32_e32 v18, v61, v9
	s_waitcnt lgkmcnt(2)
	v_sub_f32_e32 v112, v57, v5
	v_sub_f32_e32 v16, v56, v60
	;; [unrolled: 1-line block ×3, first 2 shown]
	s_waitcnt lgkmcnt(1)
	v_fma_f32 v101, -0.5, v15, v0
	v_sub_f32_e32 v107, v61, v9
	v_fma_f32 v102, -0.5, v18, v1
	v_sub_f32_e32 v15, v57, v61
	v_sub_f32_e32 v19, v5, v9
	v_fmamk_f32 v18, v112, 0x3f737871, v101
	v_add_f32_e32 v105, v16, v17
	s_waitcnt lgkmcnt(0)
	v_add_f32_e32 v20, v72, v52
	v_sub_f32_e32 v12, v52, v76
	v_add_f32_e32 v106, v15, v19
	v_fmac_f32_e32 v18, 0x3f167918, v107
	v_add_f32_e32 v15, v76, v64
	v_add_f32_e32 v19, v20, v76
	v_sub_f32_e32 v122, v52, v68
	v_sub_f32_e32 v121, v76, v64
	v_fmac_f32_e32 v18, 0x3e9e377a, v105
	v_sub_f32_e32 v76, v76, v52
	v_add_f32_e32 v52, v52, v68
	v_sub_f32_e32 v13, v68, v64
	v_sub_f32_e32 v120, v77, v65
	v_mul_f32_e32 v103, 0x3f4f1bbd, v18
	v_mul_f32_e32 v104, 0xbf167918, v18
	v_add_f32_e32 v18, v19, v64
	v_sub_f32_e32 v64, v64, v68
	v_sub_f32_e32 v14, v53, v77
	;; [unrolled: 1-line block ×3, first 2 shown]
	v_fma_f32 v99, -0.5, v15, v72
	v_add_f32_e32 v108, v18, v68
	v_fma_f32 v68, -0.5, v52, v72
	v_sub_f32_e32 v116, v53, v69
	v_add_f32_e32 v110, v12, v13
	v_add_f32_e32 v111, v14, v17
	;; [unrolled: 1-line block ×3, first 2 shown]
	v_fmamk_f32 v72, v120, 0xbf737871, v68
	v_fmac_f32_e32 v68, 0x3f737871, v120
	v_add_f32_e32 v14, v0, v56
	v_add_f32_e32 v64, v76, v64
	;; [unrolled: 1-line block ×3, first 2 shown]
	v_fmac_f32_e32 v72, 0x3f167918, v116
	v_fmac_f32_e32 v68, 0xbf167918, v116
	v_fma_f32 v100, -0.5, v12, v73
	v_add_f32_e32 v12, v14, v60
	v_sub_f32_e32 v52, v77, v53
	v_fmac_f32_e32 v72, 0x3e9e377a, v64
	v_fmac_f32_e32 v68, 0x3e9e377a, v64
	v_sub_f32_e32 v64, v65, v69
	v_add_f32_e32 v53, v53, v69
	v_add_f32_e32 v13, v20, v77
	;; [unrolled: 1-line block ×5, first 2 shown]
	v_fma_f32 v64, -0.5, v53, v73
	v_sub_f32_e32 v113, v56, v4
	v_sub_f32_e32 v109, v60, v8
	v_add_f32_e32 v14, v15, v61
	v_add_f32_e32 v13, v13, v65
	;; [unrolled: 1-line block ×3, first 2 shown]
	v_fmamk_f32 v65, v121, 0x3f737871, v64
	v_fmac_f32_e32 v64, 0xbf737871, v121
	v_sub_f32_e32 v8, v8, v4
	v_add_f32_e32 v4, v56, v4
	v_add_f32_e32 v14, v14, v9
	v_fmac_f32_e32 v65, 0xbf167918, v122
	v_fmac_f32_e32 v64, 0x3f167918, v122
	v_sub_f32_e32 v9, v9, v5
	v_fma_f32 v0, -0.5, v4, v0
	v_add_f32_e32 v119, v14, v5
	v_fmac_f32_e32 v65, 0x3e9e377a, v52
	v_fmac_f32_e32 v64, 0x3e9e377a, v52
	v_sub_f32_e32 v52, v60, v56
	v_fmamk_f32 v4, v107, 0xbf737871, v0
	v_fmac_f32_e32 v0, 0x3f737871, v107
	v_add_f32_e32 v5, v57, v5
	v_fmamk_f32 v16, v113, 0xbf737871, v102
	v_add_f32_e32 v8, v52, v8
	v_fmac_f32_e32 v4, 0x3f167918, v112
	v_fmac_f32_e32 v0, 0xbf167918, v112
	v_fma_f32 v1, -0.5, v5, v1
	v_fmac_f32_e32 v101, 0xbf737871, v112
	v_fmac_f32_e32 v102, 0x3f737871, v113
	;; [unrolled: 1-line block ×4, first 2 shown]
	v_sub_f32_e32 v8, v61, v57
	v_fmamk_f32 v5, v109, 0x3f737871, v1
	v_fmac_f32_e32 v1, 0xbf737871, v109
	v_fmac_f32_e32 v101, 0xbf167918, v107
	;; [unrolled: 1-line block ×3, first 2 shown]
	v_add_f32_e32 v8, v8, v9
	v_fmac_f32_e32 v5, 0xbf167918, v113
	v_fmac_f32_e32 v1, 0x3f167918, v113
	;; [unrolled: 1-line block ×3, first 2 shown]
	v_fmamk_f32 v114, v116, 0x3f737871, v99
	v_fmamk_f32 v115, v122, 0xbf737871, v100
	v_fmac_f32_e32 v5, 0x3e9e377a, v8
	v_fmac_f32_e32 v1, 0x3e9e377a, v8
	v_mul_f32_e32 v61, 0xbf737871, v4
	v_fmac_f32_e32 v99, 0xbf737871, v116
	v_fmac_f32_e32 v100, 0x3f737871, v122
	v_mul_f32_e32 v60, 0x3f737871, v5
	v_fmac_f32_e32 v101, 0x3e9e377a, v105
	v_fmac_f32_e32 v102, 0x3e9e377a, v106
	;; [unrolled: 1-line block ×5, first 2 shown]
	v_mul_f32_e32 v4, 0x3e9e377a, v0
	v_fmac_f32_e32 v115, 0xbf167918, v121
	v_add_f32_e32 v117, v13, v69
	v_fmac_f32_e32 v61, 0x3e9e377a, v5
	v_fmac_f32_e32 v99, 0xbf167918, v120
	v_fma_f32 v69, 0x3f737871, v1, -v4
	v_mul_f32_e32 v1, 0x3e9e377a, v1
	v_fmac_f32_e32 v100, 0x3f167918, v121
	v_mul_f32_e32 v5, 0x3f4f1bbd, v101
	v_mul_f32_e32 v8, 0x3f4f1bbd, v102
	v_fmac_f32_e32 v103, 0x3f167918, v16
	v_fmac_f32_e32 v104, 0x3f4f1bbd, v16
	v_fmac_f32_e32 v114, 0x3e9e377a, v110
	v_fmac_f32_e32 v115, 0x3e9e377a, v111
	v_mul_u32_u24_e32 v12, 10, v80
	v_fma_f32 v73, 0xbf737871, v0, -v1
	v_fmac_f32_e32 v99, 0x3e9e377a, v110
	v_fmac_f32_e32 v100, 0x3e9e377a, v111
	v_fma_f32 v76, 0x3f167918, v102, -v5
	v_fma_f32 v77, 0xbf167918, v101, -v8
	v_add_f32_e32 v123, v108, v118
	v_add_f32_e32 v124, v117, v119
	v_add_nc_u32_e32 v13, 0x4000, v93
	v_add_f32_e32 v125, v114, v103
	v_add_f32_e32 v126, v115, v104
	v_lshl_add_u32 v127, v12, 3, 0
	v_add_f32_e32 v0, v72, v60
	v_add_f32_e32 v1, v65, v61
	;; [unrolled: 1-line block ×4, first 2 shown]
	v_sub_f32_e32 v60, v72, v60
	v_add_f32_e32 v72, v75, v55
	v_sub_f32_e32 v8, v108, v118
	v_sub_f32_e32 v9, v117, v119
	v_add_f32_e32 v52, v99, v76
	v_add_f32_e32 v53, v100, v77
	v_sub_f32_e32 v56, v114, v103
	v_sub_f32_e32 v57, v115, v104
	v_sub_f32_e32 v61, v65, v61
	ds_read2_b64 v[12:15], v13 offset0:16 offset1:76
	ds_read2_b64 v[44:47], v93 offset0:120 offset1:180
	;; [unrolled: 1-line block ×4, first 2 shown]
	ds_read2_b64 v[40:43], v81 offset1:60
	ds_read2_b64 v[28:31], v98 offset0:88 offset1:148
	ds_read2_b64 v[32:35], v97 offset0:176 offset1:236
	ds_read2_b64 v[20:23], v83 offset0:136 offset1:196
	ds_read2_b64 v[24:27], v89 offset0:96 offset1:156
	ds_read2_b64 v[16:19], v94 offset0:56 offset1:116
	s_waitcnt lgkmcnt(0)
	s_barrier
	buffer_gl0_inv
	ds_write2_b64 v127, v[123:124], v[125:126] offset1:1
	v_add_f32_e32 v65, v74, v54
	ds_write2_b64 v127, v[0:1], v[4:5] offset0:2 offset1:3
	ds_write2_b64 v127, v[52:53], v[8:9] offset0:4 offset1:5
	ds_write2_b64 v127, v[56:57], v[60:61] offset0:6 offset1:7
	v_add_f32_e32 v1, v72, v79
	v_sub_f32_e32 v52, v79, v67
	v_add_f32_e32 v9, v79, v67
	v_add_f32_e32 v0, v65, v78
	v_sub_f32_e32 v56, v55, v79
	v_sub_f32_e32 v57, v79, v55
	v_add_f32_e32 v1, v1, v67
	v_add_f32_e32 v79, v3, v59
	;; [unrolled: 1-line block ×4, first 2 shown]
	v_sub_f32_e32 v5, v54, v78
	v_sub_f32_e32 v8, v78, v54
	;; [unrolled: 1-line block ×4, first 2 shown]
	v_add_f32_e32 v55, v55, v71
	v_add_f32_e32 v0, v0, v66
	v_sub_f32_e32 v72, v71, v67
	v_add_f32_e32 v78, v2, v58
	v_sub_f32_e32 v67, v67, v71
	v_add_f32_e32 v71, v1, v71
	v_add_f32_e32 v1, v79, v63
	v_sub_f32_e32 v79, v63, v11
	v_add_f32_e32 v103, v63, v11
	v_sub_f32_e32 v104, v59, v63
	v_sub_f32_e32 v63, v63, v59
	;; [unrolled: 1-line block ×3, first 2 shown]
	v_add_f32_e32 v59, v59, v7
	v_fma_f32 v105, -0.5, v105, v2
	v_add_f32_e32 v61, v54, v70
	v_sub_f32_e32 v54, v54, v70
	v_sub_f32_e32 v65, v70, v66
	;; [unrolled: 1-line block ×3, first 2 shown]
	v_add_f32_e32 v70, v0, v70
	v_add_f32_e32 v0, v78, v62
	;; [unrolled: 1-line block ×3, first 2 shown]
	v_sub_f32_e32 v101, v58, v62
	v_sub_f32_e32 v102, v62, v58
	;; [unrolled: 1-line block ×3, first 2 shown]
	v_fma_f32 v103, -0.5, v103, v3
	v_fmac_f32_e32 v3, -0.5, v59
	v_sub_f32_e32 v59, v10, v6
	v_fmamk_f32 v107, v79, 0xbf737871, v105
	v_fmac_f32_e32 v105, 0x3f737871, v79
	v_sub_f32_e32 v58, v58, v6
	v_sub_f32_e32 v108, v11, v7
	v_fmamk_f32 v109, v62, 0x3f737871, v3
	v_fmac_f32_e32 v3, 0xbf737871, v62
	v_add_f32_e32 v59, v102, v59
	v_fmac_f32_e32 v105, 0xbf167918, v106
	v_add_f32_e32 v0, v0, v10
	v_fma_f32 v78, -0.5, v78, v2
	v_add_f32_e32 v63, v63, v108
	v_fmac_f32_e32 v3, 0x3f167918, v58
	v_fmac_f32_e32 v105, 0x3e9e377a, v59
	v_sub_f32_e32 v10, v6, v10
	v_add_f32_e32 v102, v0, v6
	v_fmamk_f32 v6, v106, 0x3f737871, v78
	v_add_f32_e32 v1, v1, v11
	v_fmac_f32_e32 v3, 0x3e9e377a, v63
	v_mul_f32_e32 v0, 0x3e9e377a, v105
	v_add_f32_e32 v10, v101, v10
	v_fmac_f32_e32 v6, 0x3f167918, v79
	v_sub_f32_e32 v2, v7, v11
	v_add_f32_e32 v108, v1, v7
	v_fmamk_f32 v7, v58, 0xbf737871, v103
	v_fmac_f32_e32 v78, 0xbf737871, v106
	v_fmac_f32_e32 v103, 0x3f737871, v58
	v_fma_f32 v101, 0x3f737871, v3, -v0
	v_sub_f32_e32 v0, v68, v69
	v_add_f32_e32 v56, v56, v72
	v_fma_f32 v69, -0.5, v4, v74
	v_fma_f32 v72, -0.5, v9, v75
	v_fmac_f32_e32 v109, 0xbf167918, v58
	v_fmac_f32_e32 v6, 0x3e9e377a, v10
	v_fma_f32 v61, -0.5, v61, v74
	v_fmac_f32_e32 v75, -0.5, v55
	v_fmac_f32_e32 v107, 0x3f167918, v106
	v_add_f32_e32 v104, v104, v2
	v_fmac_f32_e32 v78, 0xbf167918, v79
	v_fmac_f32_e32 v103, 0x3f167918, v62
	;; [unrolled: 1-line block ×3, first 2 shown]
	v_add_f32_e32 v4, v8, v66
	v_fmamk_f32 v66, v60, 0x3f737871, v69
	v_fmac_f32_e32 v109, 0x3e9e377a, v63
	v_fmamk_f32 v63, v54, 0xbf737871, v72
	v_sub_f32_e32 v1, v64, v73
	v_mul_f32_e32 v64, 0x3f4f1bbd, v6
	v_mul_f32_e32 v68, 0xbf167918, v6
	v_fmamk_f32 v73, v52, 0xbf737871, v61
	v_fmac_f32_e32 v61, 0x3f737871, v52
	v_fmac_f32_e32 v107, 0x3e9e377a, v59
	v_add_f32_e32 v6, v57, v67
	v_fmamk_f32 v67, v53, 0x3f737871, v75
	v_fmac_f32_e32 v75, 0xbf737871, v53
	v_mul_f32_e32 v11, 0x3e9e377a, v3
	v_fmac_f32_e32 v69, 0xbf737871, v60
	v_fmac_f32_e32 v72, 0x3f737871, v54
	;; [unrolled: 1-line block ×5, first 2 shown]
	v_add_f32_e32 v65, v5, v65
	v_fmac_f32_e32 v66, 0x3f167918, v52
	v_fmac_f32_e32 v63, 0xbf167918, v53
	;; [unrolled: 1-line block ×4, first 2 shown]
	v_mul_f32_e32 v59, 0x3f737871, v109
	v_mul_f32_e32 v74, 0xbf737871, v107
	v_fmac_f32_e32 v67, 0xbf167918, v54
	v_fmac_f32_e32 v75, 0x3f167918, v54
	v_sub_f32_e32 v3, v100, v77
	v_fma_f32 v77, 0xbf737871, v105, -v11
	v_fmac_f32_e32 v69, 0xbf167918, v52
	v_fmac_f32_e32 v72, 0x3f167918, v53
	v_mul_f32_e32 v11, 0x3f4f1bbd, v78
	v_mul_f32_e32 v52, 0x3f4f1bbd, v103
	v_fmac_f32_e32 v64, 0x3f167918, v7
	v_fmac_f32_e32 v68, 0x3f4f1bbd, v7
	;; [unrolled: 1-line block ×4, first 2 shown]
	v_mul_i32_i24_e32 v8, 10, v82
	v_fmac_f32_e32 v73, 0x3e9e377a, v4
	v_fmac_f32_e32 v61, 0x3e9e377a, v4
	;; [unrolled: 1-line block ×8, first 2 shown]
	v_fma_f32 v60, 0x3f167918, v103, -v11
	v_fma_f32 v62, 0xbf167918, v78, -v52
	v_sub_f32_e32 v2, v99, v76
	v_add_f32_e32 v4, v70, v102
	v_add_f32_e32 v5, v71, v108
	;; [unrolled: 1-line block ×4, first 2 shown]
	v_lshl_add_u32 v76, v8, 3, 0
	v_add_f32_e32 v8, v73, v59
	v_add_f32_e32 v9, v67, v74
	v_add_f32_e32 v10, v61, v101
	v_add_f32_e32 v11, v75, v77
	v_sub_f32_e32 v52, v70, v102
	v_sub_f32_e32 v53, v71, v108
	v_add_f32_e32 v54, v69, v60
	v_add_f32_e32 v55, v72, v62
	v_sub_f32_e32 v56, v66, v64
	v_sub_f32_e32 v57, v63, v68
	;; [unrolled: 1-line block ×4, first 2 shown]
	ds_write2_b64 v127, v[0:1], v[2:3] offset0:8 offset1:9
	ds_write2_b64 v76, v[4:5], v[6:7] offset1:1
	ds_write2_b64 v76, v[8:9], v[10:11] offset0:2 offset1:3
	ds_write2_b64 v76, v[54:55], v[52:53] offset0:4 offset1:5
	;; [unrolled: 1-line block ×3, first 2 shown]
	v_add_f32_e32 v4, v32, v24
	v_sub_f32_e32 v6, v40, v32
	v_sub_f32_e32 v7, v12, v24
	v_add_f32_e32 v8, v33, v25
	v_sub_f32_e32 v10, v41, v13
	v_fma_f32 v9, -0.5, v4, v36
	v_sub_f32_e32 v52, v40, v12
	v_add_f32_e32 v11, v6, v7
	v_fma_f32 v8, -0.5, v8, v37
	v_sub_f32_e32 v53, v33, v25
	v_fmamk_f32 v6, v10, 0x3f737871, v9
	v_sub_f32_e32 v7, v41, v33
	v_sub_f32_e32 v54, v13, v25
	;; [unrolled: 1-line block ×4, first 2 shown]
	v_fmamk_f32 v55, v52, 0xbf737871, v8
	v_sub_f32_e32 v56, v32, v24
	v_fmac_f32_e32 v6, 0x3f167918, v53
	v_add_f32_e32 v54, v7, v54
	v_add_f32_e32 v7, v44, v48
	v_sub_f32_e32 v57, v49, v29
	v_fmac_f32_e32 v55, 0xbf167918, v56
	v_fmac_f32_e32 v6, 0x3e9e377a, v11
	v_sub_f32_e32 v58, v17, v21
	v_add_f32_e32 v59, v5, v4
	v_add_f32_e32 v4, v7, v28
	v_sub_f32_e32 v2, v69, v60
	v_fmac_f32_e32 v55, 0x3e9e377a, v54
	v_mul_f32_e32 v60, 0x3f4f1bbd, v6
	v_add_f32_e32 v57, v57, v58
	v_mul_f32_e32 v58, 0xbf167918, v6
	v_add_f32_e32 v4, v4, v20
	v_add_f32_e32 v5, v28, v20
	;; [unrolled: 1-line block ×3, first 2 shown]
	v_sub_f32_e32 v0, v61, v101
	v_fmac_f32_e32 v60, 0x3f167918, v55
	v_fmac_f32_e32 v58, 0x3f4f1bbd, v55
	v_add_f32_e32 v55, v4, v16
	v_fma_f32 v61, -0.5, v5, v44
	v_add_f32_e32 v4, v29, v21
	v_add_f32_e32 v5, v6, v29
	;; [unrolled: 1-line block ×4, first 2 shown]
	v_sub_f32_e32 v3, v72, v62
	v_fma_f32 v63, -0.5, v4, v45
	v_sub_f32_e32 v62, v49, v17
	v_add_f32_e32 v4, v6, v32
	v_add_f32_e32 v6, v7, v33
	;; [unrolled: 1-line block ×3, first 2 shown]
	v_sub_f32_e32 v64, v48, v16
	v_sub_f32_e32 v66, v29, v21
	;; [unrolled: 1-line block ×3, first 2 shown]
	v_fmamk_f32 v65, v62, 0x3f737871, v61
	v_fma_f32 v44, -0.5, v7, v44
	v_fmamk_f32 v67, v64, 0xbf737871, v63
	v_sub_f32_e32 v68, v28, v20
	v_sub_f32_e32 v28, v28, v48
	;; [unrolled: 1-line block ×3, first 2 shown]
	v_fmamk_f32 v20, v66, 0xbf737871, v44
	v_fmac_f32_e32 v44, 0x3f737871, v66
	v_add_f32_e32 v5, v5, v21
	v_add_f32_e32 v4, v4, v24
	;; [unrolled: 1-line block ×3, first 2 shown]
	v_fmac_f32_e32 v65, 0x3f167918, v66
	v_fmac_f32_e32 v67, 0xbf167918, v68
	ds_write2_b64 v76, v[0:1], v[2:3] offset0:8 offset1:9
	v_add_f32_e32 v0, v28, v16
	v_fmac_f32_e32 v20, 0x3f167918, v62
	v_fmac_f32_e32 v44, 0xbf167918, v62
	v_add_f32_e32 v69, v5, v17
	v_add_f32_e32 v70, v4, v12
	;; [unrolled: 1-line block ×3, first 2 shown]
	v_fmac_f32_e32 v65, 0x3e9e377a, v59
	v_fmac_f32_e32 v67, 0x3e9e377a, v57
	v_mul_i32_i24_e32 v72, 10, v91
	v_add_f32_e32 v1, v49, v17
	v_sub_f32_e32 v2, v29, v49
	v_sub_f32_e32 v3, v21, v17
	v_fmac_f32_e32 v20, 0x3e9e377a, v0
	v_fmac_f32_e32 v44, 0x3e9e377a, v0
	v_add_f32_e32 v0, v41, v13
	v_add_f32_e32 v4, v55, v70
	;; [unrolled: 1-line block ×5, first 2 shown]
	v_lshl_add_u32 v72, v72, 3, 0
	v_fma_f32 v16, -0.5, v1, v45
	v_add_f32_e32 v1, v2, v3
	v_add_f32_e32 v2, v40, v12
	v_fma_f32 v0, -0.5, v0, v37
	ds_write2_b64 v72, v[4:5], v[6:7] offset1:1
	v_sub_f32_e32 v4, v33, v41
	v_sub_f32_e32 v5, v25, v13
	v_fma_f32 v2, -0.5, v2, v36
	v_fmamk_f32 v6, v56, 0x3f737871, v0
	v_fmac_f32_e32 v0, 0xbf737871, v56
	v_sub_f32_e32 v3, v32, v40
	v_sub_f32_e32 v7, v24, v12
	v_fmamk_f32 v12, v53, 0xbf737871, v2
	v_add_f32_e32 v4, v4, v5
	v_fmac_f32_e32 v6, 0xbf167918, v52
	v_fmac_f32_e32 v2, 0x3f737871, v53
	;; [unrolled: 1-line block ×5, first 2 shown]
	v_fmamk_f32 v17, v68, 0x3f737871, v16
	v_fmac_f32_e32 v16, 0xbf737871, v68
	v_add_f32_e32 v3, v3, v7
	v_fmac_f32_e32 v12, 0x3f167918, v10
	v_fmac_f32_e32 v6, 0x3e9e377a, v4
	;; [unrolled: 1-line block ×9, first 2 shown]
	v_mul_f32_e32 v13, 0x3f737871, v6
	v_fmac_f32_e32 v2, 0x3e9e377a, v3
	v_mul_f32_e32 v3, 0x3e9e377a, v0
	v_fmac_f32_e32 v61, 0xbf737871, v62
	v_fmac_f32_e32 v63, 0x3f737871, v64
	;; [unrolled: 1-line block ×7, first 2 shown]
	v_mul_f32_e32 v12, 0xbf737871, v12
	v_mul_f32_e32 v1, 0x3e9e377a, v2
	v_fma_f32 v24, 0xbf737871, v2, -v3
	v_fmac_f32_e32 v61, 0xbf167918, v66
	v_fmac_f32_e32 v63, 0x3f167918, v68
	v_mul_f32_e32 v3, 0x3f4f1bbd, v9
	v_mul_f32_e32 v4, 0x3f4f1bbd, v8
	v_fmac_f32_e32 v12, 0x3e9e377a, v6
	v_fma_f32 v21, 0x3f737871, v0, -v1
	v_fmac_f32_e32 v61, 0x3e9e377a, v59
	v_fmac_f32_e32 v63, 0x3e9e377a, v57
	v_fma_f32 v25, 0x3f167918, v8, -v3
	v_fma_f32 v28, 0xbf167918, v9, -v4
	v_add_f32_e32 v0, v20, v13
	v_add_f32_e32 v1, v17, v12
	;; [unrolled: 1-line block ×4, first 2 shown]
	v_sub_f32_e32 v4, v55, v70
	v_sub_f32_e32 v5, v69, v71
	v_add_f32_e32 v6, v61, v25
	v_add_f32_e32 v7, v63, v28
	v_sub_f32_e32 v8, v65, v60
	v_sub_f32_e32 v9, v67, v58
	;; [unrolled: 1-line block ×8, first 2 shown]
	ds_write2_b64 v72, v[0:1], v[2:3] offset0:2 offset1:3
	ds_write2_b64 v72, v[6:7], v[4:5] offset0:4 offset1:5
	;; [unrolled: 1-line block ×4, first 2 shown]
	v_cmpx_gt_u32_e32 36, v80
	s_cbranch_execz .LBB0_15
; %bb.14:
	v_add_f32_e32 v1, v31, v23
	v_add_f32_e32 v3, v34, v26
	;; [unrolled: 1-line block ×3, first 2 shown]
	v_sub_f32_e32 v4, v50, v18
	v_sub_f32_e32 v7, v43, v35
	v_fma_f32 v6, -0.5, v1, v47
	v_fma_f32 v8, -0.5, v3, v38
	v_sub_f32_e32 v3, v42, v14
	v_fma_f32 v10, -0.5, v5, v39
	v_sub_f32_e32 v9, v15, v27
	v_sub_f32_e32 v0, v51, v31
	;; [unrolled: 1-line block ×4, first 2 shown]
	v_fmamk_f32 v12, v3, 0x3f737871, v10
	v_add_f32_e32 v7, v7, v9
	v_sub_f32_e32 v9, v30, v22
	v_fmamk_f32 v20, v4, 0x3f737871, v6
	v_fmac_f32_e32 v10, 0xbf737871, v3
	v_fmac_f32_e32 v6, 0xbf737871, v4
	v_sub_f32_e32 v5, v43, v15
	v_fmac_f32_e32 v12, 0x3f167918, v11
	v_add_f32_e32 v0, v0, v2
	v_fmac_f32_e32 v20, 0x3f167918, v9
	v_add_f32_e32 v24, v51, v19
	v_fmac_f32_e32 v10, 0xbf167918, v11
	v_fmac_f32_e32 v6, 0xbf167918, v9
	v_sub_f32_e32 v1, v42, v34
	v_sub_f32_e32 v13, v14, v26
	v_fmamk_f32 v16, v5, 0xbf737871, v8
	v_sub_f32_e32 v17, v35, v27
	v_fmac_f32_e32 v12, 0x3e9e377a, v7
	v_fmac_f32_e32 v20, 0x3e9e377a, v0
	v_fma_f32 v24, -0.5, v24, v47
	v_fmac_f32_e32 v8, 0x3f737871, v5
	v_fmac_f32_e32 v10, 0x3e9e377a, v7
	;; [unrolled: 1-line block ×3, first 2 shown]
	v_add_f32_e32 v0, v47, v51
	v_add_f32_e32 v7, v39, v43
	v_add_f32_e32 v28, v42, v14
	v_add_f32_e32 v13, v1, v13
	v_fmac_f32_e32 v16, 0xbf167918, v17
	v_sub_f32_e32 v21, v31, v51
	v_add_f32_e32 v25, v43, v15
	v_sub_f32_e32 v29, v23, v19
	v_fmamk_f32 v44, v9, 0xbf737871, v24
	v_fmac_f32_e32 v24, 0x3f737871, v9
	v_fmac_f32_e32 v8, 0x3f167918, v17
	v_add_f32_e32 v0, v0, v31
	v_add_f32_e32 v7, v7, v35
	v_fma_f32 v28, -0.5, v28, v38
	v_fmac_f32_e32 v16, 0x3e9e377a, v13
	v_mul_f32_e32 v1, 0x3f4f1bbd, v12
	v_fma_f32 v25, -0.5, v25, v39
	v_add_f32_e32 v21, v21, v29
	v_fmac_f32_e32 v44, 0x3f167918, v4
	v_fmac_f32_e32 v24, 0xbf167918, v4
	;; [unrolled: 1-line block ×3, first 2 shown]
	v_add_f32_e32 v4, v30, v22
	v_sub_f32_e32 v13, v31, v23
	v_add_f32_e32 v0, v0, v23
	v_add_f32_e32 v7, v7, v27
	;; [unrolled: 1-line block ×3, first 2 shown]
	v_sub_f32_e32 v32, v34, v42
	v_sub_f32_e32 v40, v26, v14
	v_fmamk_f32 v41, v17, 0x3f737871, v28
	v_fmac_f32_e32 v28, 0xbf737871, v17
	v_fma_f32 v2, 0xbf167918, v16, -v1
	v_sub_f32_e32 v33, v35, v43
	v_sub_f32_e32 v36, v27, v15
	v_fmamk_f32 v37, v11, 0xbf737871, v25
	v_fmac_f32_e32 v25, 0x3f737871, v11
	v_fmac_f32_e32 v44, 0x3e9e377a, v21
	v_fmac_f32_e32 v24, 0x3e9e377a, v21
	v_fma_f32 v21, -0.5, v4, v46
	v_sub_f32_e32 v4, v51, v19
	v_add_f32_e32 v19, v0, v19
	v_add_f32_e32 v27, v7, v15
	v_fma_f32 v23, -0.5, v23, v46
	v_mul_f32_e32 v0, 0x3f4f1bbd, v16
	v_sub_f32_e32 v15, v30, v50
	v_sub_f32_e32 v16, v22, v18
	v_add_f32_e32 v32, v32, v40
	v_fmac_f32_e32 v28, 0x3f167918, v5
	v_add_f32_e32 v33, v33, v36
	v_fmac_f32_e32 v37, 0x3f167918, v3
	v_fmac_f32_e32 v25, 0xbf167918, v3
	v_fmamk_f32 v31, v13, 0x3f737871, v23
	v_fma_f32 v35, 0x3f167918, v12, -v0
	v_add_f32_e32 v12, v15, v16
	v_fmac_f32_e32 v23, 0xbf737871, v13
	v_add_f32_e32 v15, v46, v50
	v_add_f32_e32 v16, v38, v42
	v_fmac_f32_e32 v41, 0xbf167918, v5
	v_fmac_f32_e32 v28, 0x3e9e377a, v32
	;; [unrolled: 1-line block ×4, first 2 shown]
	v_sub_f32_e32 v9, v50, v30
	v_sub_f32_e32 v11, v18, v22
	v_fmamk_f32 v33, v4, 0xbf737871, v21
	v_fmac_f32_e32 v31, 0xbf167918, v4
	v_fmac_f32_e32 v23, 0x3f167918, v4
	v_add_f32_e32 v15, v15, v30
	v_add_f32_e32 v16, v16, v34
	v_fmac_f32_e32 v21, 0x3f737871, v4
	v_fmac_f32_e32 v41, 0x3e9e377a, v32
	v_mul_f32_e32 v32, 0xbf737871, v28
	v_mul_f32_e32 v17, 0xbf167918, v8
	v_add_f32_e32 v11, v9, v11
	v_fmac_f32_e32 v33, 0xbf167918, v13
	v_fmac_f32_e32 v31, 0x3e9e377a, v12
	;; [unrolled: 1-line block ×3, first 2 shown]
	v_add_f32_e32 v4, v15, v22
	v_add_f32_e32 v12, v16, v26
	v_fmac_f32_e32 v21, 0x3f167918, v13
	v_mul_f32_e32 v22, 0x3f4f1bbd, v8
	v_mul_f32_e32 v29, 0x3e9e377a, v37
	v_fmac_f32_e32 v32, 0x3e9e377a, v25
	v_mul_f32_e32 v36, 0x3e9e377a, v41
	v_mul_f32_e32 v25, 0x3f737871, v25
	v_sub_f32_e32 v1, v20, v2
	v_fmac_f32_e32 v17, 0x3f4f1bbd, v10
	v_fmac_f32_e32 v33, 0x3e9e377a, v11
	v_add_f32_e32 v18, v4, v18
	v_add_f32_e32 v14, v12, v14
	v_fmac_f32_e32 v21, 0x3e9e377a, v11
	v_fmac_f32_e32 v22, 0x3f167918, v10
	v_add_f32_e32 v11, v20, v2
	v_mul_i32_i24_e32 v2, 10, v90
	v_fma_f32 v29, 0xbf737871, v41, -v29
	v_fmac_f32_e32 v25, 0x3e9e377a, v28
	v_fma_f32 v26, 0x3f737871, v37, -v36
	v_sub_f32_e32 v7, v6, v17
	v_sub_f32_e32 v9, v19, v27
	;; [unrolled: 1-line block ×3, first 2 shown]
	v_add_f32_e32 v17, v6, v17
	v_add_f32_e32 v19, v19, v27
	;; [unrolled: 1-line block ×4, first 2 shown]
	v_lshl_add_u32 v20, v2, 3, 0
	v_add_f32_e32 v13, v44, v29
	v_add_f32_e32 v15, v24, v32
	;; [unrolled: 1-line block ×5, first 2 shown]
	v_sub_f32_e32 v5, v24, v32
	v_sub_f32_e32 v4, v23, v25
	v_sub_f32_e32 v6, v21, v22
	v_sub_f32_e32 v3, v44, v29
	v_sub_f32_e32 v0, v33, v35
	v_sub_f32_e32 v2, v31, v26
	ds_write2_b64 v20, v[18:19], v[16:17] offset1:1
	ds_write2_b64 v20, v[14:15], v[12:13] offset0:2 offset1:3
	ds_write2_b64 v20, v[10:11], v[8:9] offset0:4 offset1:5
	ds_write2_b64 v20, v[6:7], v[4:5] offset0:6 offset1:7
	ds_write2_b64 v20, v[2:3], v[0:1] offset0:8 offset1:9
.LBB0_15:
	s_or_b32 exec_lo, exec_lo, s1
	v_and_b32_e32 v0, 0xff, v82
	v_and_b32_e32 v18, 0xff, v91
	;; [unrolled: 1-line block ×3, first 2 shown]
	v_add_nc_u32_e32 v17, 0xf0, v80
	v_mov_b32_e32 v3, 0xcccd
	v_mul_lo_u16 v0, 0xcd, v0
	v_mul_lo_u16 v1, 0xcd, v18
	;; [unrolled: 1-line block ×3, first 2 shown]
	s_waitcnt lgkmcnt(0)
	v_mul_u32_u24_sdwa v13, v17, v3 dst_sel:DWORD dst_unused:UNUSED_PAD src0_sel:WORD_0 src1_sel:DWORD
	v_lshrrev_b16 v27, 11, v0
	v_lshrrev_b16 v25, 11, v1
	v_mov_b32_e32 v1, 5
	s_barrier
	buffer_gl0_inv
	v_mul_lo_u16 v0, v27, 10
	v_mul_lo_u16 v2, v25, 10
	v_lshrrev_b16 v29, 11, v12
	v_lshrrev_b32_e32 v21, 19, v13
	v_and_b32_e32 v14, 0xff, v80
	v_sub_nc_u16 v28, v82, v0
	v_sub_nc_u16 v26, v91, v2
	v_mul_lo_u16 v12, v29, 10
	v_mul_lo_u16 v13, v21, 10
	v_add_nc_u32_e32 v19, 0x12c, v80
	v_mul_u32_u24_sdwa v0, v28, v1 dst_sel:DWORD dst_unused:UNUSED_PAD src0_sel:BYTE_0 src1_sel:DWORD
	v_mul_u32_u24_sdwa v2, v26, v1 dst_sel:DWORD dst_unused:UNUSED_PAD src0_sel:BYTE_0 src1_sel:DWORD
	v_sub_nc_u16 v30, v90, v12
	v_sub_nc_u16 v22, v17, v13
	v_mul_lo_u16 v14, 0xcd, v14
	v_lshlrev_b32_e32 v0, 3, v0
	v_lshlrev_b32_e32 v2, 3, v2
	v_mul_u32_u24_sdwa v12, v30, v1 dst_sel:DWORD dst_unused:UNUSED_PAD src0_sel:BYTE_0 src1_sel:DWORD
	v_mul_u32_u24_sdwa v13, v22, v1 dst_sel:DWORD dst_unused:UNUSED_PAD src0_sel:WORD_0 src1_sel:DWORD
	v_mul_u32_u24_sdwa v3, v19, v3 dst_sel:DWORD dst_unused:UNUSED_PAD src0_sel:WORD_0 src1_sel:DWORD
	s_clause 0x3
	global_load_dwordx4 v[4:7], v0, s[8:9]
	global_load_dwordx4 v[33:36], v0, s[8:9] offset:16
	global_load_dwordx4 v[8:11], v2, s[8:9]
	global_load_dwordx4 v[37:40], v2, s[8:9] offset:16
	v_lshlrev_b32_e32 v12, 3, v12
	v_lshlrev_b32_e32 v13, 3, v13
	v_lshrrev_b16 v31, 11, v14
	v_lshrrev_b32_e32 v23, 19, v3
	v_add_nc_u32_e32 v16, 0x2400, v93
	s_clause 0x3
	global_load_dwordx4 v[41:44], v12, s[8:9]
	global_load_dwordx4 v[49:52], v12, s[8:9] offset:16
	global_load_dwordx4 v[45:48], v13, s[8:9]
	global_load_dwordx4 v[53:56], v13, s[8:9] offset:16
	v_mul_lo_u16 v3, v31, 10
	v_mul_lo_u16 v14, v23, 10
	v_add_nc_u32_e32 v15, 0x3400, v93
	v_mul_lo_u16 v20, 0x89, v20
	s_add_u32 s1, s8, 0x4330
	v_sub_nc_u16 v32, v80, v3
	v_sub_nc_u16 v24, v19, v14
	s_addc_u32 s4, s9, 0
	s_mov_b32 s5, exec_lo
	v_mul_u32_u24_sdwa v3, v32, v1 dst_sel:DWORD dst_unused:UNUSED_PAD src0_sel:BYTE_0 src1_sel:DWORD
	v_mul_u32_u24_sdwa v1, v24, v1 dst_sel:DWORD dst_unused:UNUSED_PAD src0_sel:WORD_0 src1_sel:DWORD
	v_lshlrev_b32_e32 v3, 3, v3
	v_lshlrev_b32_e32 v1, 3, v1
	s_clause 0x9
	global_load_dwordx2 v[77:78], v3, s[8:9] offset:32
	global_load_dwordx4 v[57:60], v1, s[8:9] offset:16
	global_load_dwordx4 v[61:64], v3, s[8:9] offset:16
	global_load_dwordx2 v[111:112], v0, s[8:9] offset:32
	global_load_dwordx2 v[113:114], v2, s[8:9] offset:32
	global_load_dwordx4 v[65:68], v1, s[8:9]
	global_load_dwordx4 v[69:72], v3, s[8:9]
	global_load_dwordx2 v[115:116], v12, s[8:9] offset:32
	global_load_dwordx2 v[117:118], v13, s[8:9] offset:32
	;; [unrolled: 1-line block ×3, first 2 shown]
	ds_read2_b64 v[73:76], v95 offset0:164 offset1:224
	ds_read2_b64 v[99:102], v81 offset0:12 offset1:72
	;; [unrolled: 1-line block ×5, first 2 shown]
	s_waitcnt vmcnt(17) lgkmcnt(4)
	v_mul_f32_e32 v12, v74, v5
	v_mul_f32_e32 v79, v73, v5
	s_waitcnt lgkmcnt(3)
	v_mul_f32_e32 v5, v100, v7
	v_mul_f32_e32 v121, v99, v7
	s_waitcnt vmcnt(15)
	v_mul_f32_e32 v13, v76, v9
	v_fma_f32 v123, v73, v4, -v12
	v_fmac_f32_e32 v79, v74, v4
	v_fma_f32 v99, v99, v6, -v5
	v_fmac_f32_e32 v121, v100, v6
	ds_read2_b64 v[4:7], v85 offset0:28 offset1:88
	v_mul_f32_e32 v122, v75, v9
	v_mul_f32_e32 v9, v102, v11
	;; [unrolled: 1-line block ×3, first 2 shown]
	v_fma_f32 v124, v75, v8, -v13
	ds_read2_b64 v[11:14], v81 offset0:132 offset1:192
	v_fmac_f32_e32 v122, v76, v8
	v_fma_f32 v101, v101, v10, -v9
	v_fmac_f32_e32 v100, v102, v10
	s_waitcnt lgkmcnt(3)
	v_mul_f32_e32 v8, v104, v34
	v_mul_f32_e32 v102, v103, v34
	s_waitcnt lgkmcnt(2)
	v_mul_f32_e32 v9, v108, v36
	v_mul_f32_e32 v125, v107, v36
	s_waitcnt vmcnt(14)
	v_mul_f32_e32 v10, v106, v38
	v_mul_f32_e32 v126, v105, v38
	;; [unrolled: 1-line block ×3, first 2 shown]
	v_fma_f32 v103, v103, v33, -v8
	v_fmac_f32_e32 v102, v104, v33
	v_fma_f32 v104, v107, v35, -v9
	v_fmac_f32_e32 v125, v108, v35
	v_mul_f32_e32 v107, v109, v40
	v_fma_f32 v105, v105, v37, -v10
	v_fmac_f32_e32 v126, v106, v37
	ds_read2_b64 v[33:36], v16 offset0:108 offset1:168
	v_fma_f32 v106, v109, v39, -v38
	ds_read2_b64 v[73:76], v89 offset0:84 offset1:144
	s_waitcnt vmcnt(13) lgkmcnt(3)
	v_mul_f32_e32 v8, v5, v42
	v_mul_f32_e32 v108, v4, v42
	s_waitcnt vmcnt(11)
	v_mul_f32_e32 v10, v7, v46
	v_mul_f32_e32 v38, v6, v46
	v_fmac_f32_e32 v107, v110, v39
	s_waitcnt lgkmcnt(2)
	v_mul_f32_e32 v9, v12, v44
	v_fma_f32 v110, v4, v41, -v8
	v_fmac_f32_e32 v108, v5, v41
	v_fma_f32 v39, v6, v45, -v10
	v_fmac_f32_e32 v38, v7, v45
	ds_read2_b64 v[4:7], v15 offset0:76 offset1:136
	v_mul_f32_e32 v109, v11, v44
	v_fma_f32 v127, v11, v43, -v9
	ds_read2_b64 v[8:11], v83 offset0:100 offset1:160
	v_mul_f32_e32 v128, v13, v48
	v_mul_f32_e32 v37, v14, v48
	v_fmac_f32_e32 v109, v12, v43
	s_waitcnt lgkmcnt(3)
	v_mul_f32_e32 v12, v34, v50
	v_mul_f32_e32 v130, v33, v50
	v_fmac_f32_e32 v128, v14, v47
	s_waitcnt lgkmcnt(2)
	v_mul_f32_e32 v131, v73, v52
	s_waitcnt vmcnt(10)
	v_mul_f32_e32 v14, v36, v54
	v_fma_f32 v129, v13, v47, -v37
	v_mul_f32_e32 v13, v74, v52
	v_fma_f32 v133, v33, v49, -v12
	v_fmac_f32_e32 v131, v74, v51
	v_fma_f32 v135, v35, v53, -v14
	ds_read2_b64 v[41:44], v94 offset0:68 offset1:128
	v_fmac_f32_e32 v130, v34, v49
	v_fma_f32 v73, v73, v51, -v13
	s_waitcnt vmcnt(9) lgkmcnt(2)
	v_mul_f32_e32 v12, v7, v78
	v_mul_f32_e32 v74, v6, v78
	s_waitcnt vmcnt(8)
	v_mul_f32_e32 v14, v5, v60
	v_mul_f32_e32 v33, v4, v60
	ds_read2_b64 v[45:48], v98 offset0:124 offset1:184
	s_waitcnt lgkmcnt(2)
	v_mul_f32_e32 v13, v9, v58
	v_mul_f32_e32 v34, v8, v58
	v_fma_f32 v58, v6, v77, -v12
	v_fmac_f32_e32 v74, v7, v77
	v_fma_f32 v40, v4, v59, -v14
	v_fmac_f32_e32 v33, v5, v59
	ds_read2_b64 v[4:7], v85 offset0:148 offset1:208
	ds_read2_b64 v[49:52], v94 offset0:188 offset1:248
	v_mul_f32_e32 v37, v76, v56
	s_waitcnt vmcnt(7)
	v_mul_f32_e32 v59, v10, v64
	v_mul_f32_e32 v132, v35, v54
	;; [unrolled: 1-line block ×4, first 2 shown]
	v_fma_f32 v136, v75, v55, -v37
	v_fma_f32 v37, v8, v57, -v13
	s_waitcnt vmcnt(6) lgkmcnt(3)
	v_mul_f32_e32 v8, v42, v112
	v_fmac_f32_e32 v34, v9, v57
	v_fmac_f32_e32 v59, v11, v63
	v_mul_f32_e32 v11, v41, v112
	s_waitcnt vmcnt(5)
	v_mul_f32_e32 v9, v44, v114
	v_fma_f32 v60, v41, v111, -v8
	s_waitcnt vmcnt(4) lgkmcnt(2)
	v_mul_f32_e32 v35, v46, v68
	v_fmac_f32_e32 v132, v36, v53
	v_fmac_f32_e32 v134, v76, v55
	v_fma_f32 v10, v10, v63, -v12
	v_mul_f32_e32 v12, v48, v62
	s_waitcnt lgkmcnt(1)
	v_mul_f32_e32 v41, v5, v66
	v_mul_f32_e32 v57, v43, v114
	v_fmac_f32_e32 v11, v42, v111
	v_mul_f32_e32 v62, v47, v62
	v_fma_f32 v63, v43, v113, -v9
	ds_read2_b64 v[53:56], v93 offset1:240
	ds_read_b64 v[8:9], v93 offset:16800
	v_lshl_add_u32 v14, v82, 3, 0
	v_fma_f32 v42, v45, v67, -v35
	v_mul_f32_e32 v36, v4, v66
	s_waitcnt vmcnt(3)
	v_mul_f32_e32 v43, v3, v70
	v_fma_f32 v35, v4, v65, -v41
	s_waitcnt vmcnt(2) lgkmcnt(2)
	v_mul_f32_e32 v4, v50, v116
	v_fmac_f32_e32 v57, v44, v113
	v_fma_f32 v47, v47, v61, -v12
	v_fmac_f32_e32 v62, v48, v61
	v_mul_f32_e32 v111, v45, v68
	v_lshl_add_u32 v13, v91, 3, 0
	v_mul_f32_e32 v44, v7, v72
	v_fmac_f32_e32 v36, v5, v65
	v_mul_f32_e32 v45, v6, v72
	v_mul_f32_e32 v61, v2, v70
	v_fma_f32 v66, v2, v69, -v43
	v_fma_f32 v2, v49, v115, -v4
	ds_read_b64 v[4:5], v14
	v_lshl_add_u32 v12, v90, 3, 0
	v_fma_f32 v48, v6, v71, -v44
	v_fmac_f32_e32 v45, v7, v71
	s_waitcnt vmcnt(1)
	v_mul_f32_e32 v64, v52, v118
	ds_read_b64 v[6:7], v13
	ds_read_b64 v[43:44], v12
	v_fmac_f32_e32 v111, v46, v67
	v_mul_f32_e32 v46, v49, v116
	v_mul_f32_e32 v112, v51, v118
	v_fmac_f32_e32 v61, v3, v69
	v_fma_f32 v113, v51, v117, -v64
	v_add_f32_e32 v51, v47, v58
	s_waitcnt vmcnt(0) lgkmcnt(3)
	v_mul_f32_e32 v65, v9, v120
	v_fmac_f32_e32 v46, v50, v115
	v_fmac_f32_e32 v112, v52, v117
	v_add_f32_e32 v50, v66, v47
	v_sub_f32_e32 v52, v62, v74
	v_add_f32_e32 v64, v61, v62
	v_add_f32_e32 v62, v62, v74
	v_fmac_f32_e32 v66, -0.5, v51
	v_add_f32_e32 v51, v103, v60
	v_mul_f32_e32 v41, v8, v120
	v_fma_f32 v114, v8, v119, -v65
	v_add_f32_e32 v49, v54, v45
	v_sub_f32_e32 v47, v47, v58
	s_waitcnt lgkmcnt(2)
	v_add_f32_e32 v65, v4, v99
	v_add_f32_e32 v67, v99, v104
	;; [unrolled: 1-line block ×3, first 2 shown]
	v_sub_f32_e32 v69, v99, v104
	v_add_f32_e32 v50, v50, v58
	v_add_f32_e32 v58, v123, v103
	v_fmac_f32_e32 v61, -0.5, v62
	v_add_f32_e32 v62, v79, v102
	v_fmac_f32_e32 v123, -0.5, v51
	v_add_f32_e32 v51, v124, v105
	v_add_f32_e32 v99, v126, v57
	v_fmac_f32_e32 v41, v9, v119
	v_add_f32_e32 v3, v53, v48
	v_add_f32_e32 v8, v48, v10
	v_sub_f32_e32 v9, v45, v59
	v_add_f32_e32 v45, v45, v59
	v_add_f32_e32 v49, v49, v59
	;; [unrolled: 1-line block ×4, first 2 shown]
	v_sub_f32_e32 v70, v102, v11
	v_add_f32_e32 v71, v102, v11
	v_sub_f32_e32 v72, v103, v60
	s_waitcnt lgkmcnt(1)
	v_add_f32_e32 v74, v6, v101
	v_add_f32_e32 v75, v101, v106
	v_fmac_f32_e32 v5, -0.5, v68
	v_sub_f32_e32 v68, v100, v107
	v_add_f32_e32 v58, v58, v60
	v_add_f32_e32 v60, v7, v100
	;; [unrolled: 1-line block ×3, first 2 shown]
	v_sub_f32_e32 v77, v101, v106
	v_add_f32_e32 v11, v62, v11
	v_add_f32_e32 v62, v105, v63
	;; [unrolled: 1-line block ×3, first 2 shown]
	v_sub_f32_e32 v100, v105, v63
	s_waitcnt lgkmcnt(0)
	v_add_f32_e32 v101, v43, v127
	v_add_f32_e32 v63, v51, v63
	;; [unrolled: 1-line block ×3, first 2 shown]
	v_fmac_f32_e32 v122, -0.5, v99
	v_add_f32_e32 v99, v133, v2
	v_sub_f32_e32 v48, v48, v10
	v_add_f32_e32 v3, v3, v10
	v_sub_f32_e32 v10, v121, v125
	v_add_f32_e32 v65, v65, v104
	v_add_f32_e32 v59, v59, v125
	v_fmac_f32_e32 v79, -0.5, v71
	v_sub_f32_e32 v71, v126, v57
	v_add_f32_e32 v60, v60, v107
	v_fmac_f32_e32 v7, -0.5, v76
	v_add_f32_e32 v76, v127, v73
	v_sub_f32_e32 v102, v109, v131
	v_fmac_f32_e32 v124, -0.5, v62
	v_add_f32_e32 v62, v109, v131
	v_sub_f32_e32 v103, v127, v73
	v_add_f32_e32 v57, v78, v57
	v_add_f32_e32 v78, v110, v133
	;; [unrolled: 1-line block ×3, first 2 shown]
	v_sub_f32_e32 v73, v130, v46
	v_add_f32_e32 v104, v51, v131
	v_add_f32_e32 v51, v108, v130
	v_add_f32_e32 v105, v130, v46
	v_fma_f32 v8, -0.5, v8, v53
	v_fma_f32 v107, -0.5, v45, v54
	;; [unrolled: 1-line block ×3, first 2 shown]
	v_fmac_f32_e32 v110, -0.5, v99
	v_add_f32_e32 v74, v74, v106
	v_sub_f32_e32 v106, v133, v2
	v_fma_f32 v6, -0.5, v75, v6
	v_fmac_f32_e32 v44, -0.5, v62
	v_add_f32_e32 v116, v51, v46
	v_fmac_f32_e32 v108, -0.5, v105
	v_fmamk_f32 v62, v9, 0x3f5db3d7, v8
	v_fmac_f32_e32 v8, 0xbf5db3d7, v9
	v_fmamk_f32 v9, v48, 0xbf5db3d7, v107
	v_fmac_f32_e32 v107, 0x3f5db3d7, v48
	;; [unrolled: 2-line block ×4, first 2 shown]
	v_add_f32_e32 v45, v3, v50
	v_add_f32_e32 v46, v49, v64
	v_sub_f32_e32 v47, v3, v50
	v_sub_f32_e32 v48, v49, v64
	v_fmamk_f32 v75, v10, 0x3f5db3d7, v109
	v_fmac_f32_e32 v109, 0xbf5db3d7, v10
	v_fmamk_f32 v10, v69, 0xbf5db3d7, v5
	v_fmac_f32_e32 v5, 0x3f5db3d7, v69
	;; [unrolled: 2-line block ×4, first 2 shown]
	v_add_f32_e32 v49, v65, v58
	v_add_f32_e32 v50, v59, v11
	v_sub_f32_e32 v51, v65, v58
	v_sub_f32_e32 v52, v59, v11
	v_fmamk_f32 v11, v71, 0x3f5db3d7, v124
	v_fmac_f32_e32 v124, 0xbf5db3d7, v71
	v_fmamk_f32 v58, v100, 0xbf5db3d7, v122
	v_add_f32_e32 v54, v60, v57
	v_sub_f32_e32 v3, v60, v57
	v_fmamk_f32 v57, v73, 0x3f5db3d7, v110
	v_fmac_f32_e32 v110, 0xbf5db3d7, v73
	v_fma_f32 v43, -0.5, v76, v43
	v_add_f32_e32 v115, v78, v2
	v_fmamk_f32 v76, v68, 0x3f5db3d7, v6
	v_fmac_f32_e32 v6, 0xbf5db3d7, v68
	v_fmamk_f32 v78, v77, 0xbf5db3d7, v7
	v_fmac_f32_e32 v7, 0x3f5db3d7, v77
	v_fmac_f32_e32 v122, 0x3f5db3d7, v100
	v_fmamk_f32 v59, v106, 0xbf5db3d7, v108
	v_fmac_f32_e32 v108, 0x3f5db3d7, v106
	v_mul_f32_e32 v60, 0x3f5db3d7, v67
	v_mul_f32_e32 v65, 0xbf5db3d7, v4
	v_mul_f32_e32 v68, -0.5, v61
	v_mul_f32_e32 v70, 0x3f5db3d7, v69
	v_mul_f32_e32 v71, -0.5, v123
	;; [unrolled: 2-line block ×4, first 2 shown]
	v_mul_f32_e32 v106, -0.5, v110
	v_add_f32_e32 v53, v74, v63
	v_sub_f32_e32 v2, v74, v63
	v_fmamk_f32 v100, v102, 0x3f5db3d7, v43
	v_fmac_f32_e32 v43, 0xbf5db3d7, v102
	v_fmamk_f32 v102, v103, 0xbf5db3d7, v44
	v_fmac_f32_e32 v44, 0x3f5db3d7, v103
	v_mul_f32_e32 v63, -0.5, v66
	v_fmac_f32_e32 v60, 0.5, v4
	v_fmac_f32_e32 v65, 0.5, v67
	v_fmac_f32_e32 v68, 0xbf5db3d7, v66
	v_fmac_f32_e32 v70, 0.5, v64
	v_fmac_f32_e32 v71, 0x3f5db3d7, v79
	v_mul_f32_e32 v79, 0xbf5db3d7, v11
	v_fmac_f32_e32 v72, 0.5, v69
	v_mul_f32_e32 v103, -0.5, v122
	v_fmac_f32_e32 v73, 0xbf5db3d7, v123
	v_mul_f32_e32 v105, 0x3f5db3d7, v59
	v_fmac_f32_e32 v77, 0.5, v11
	v_fmac_f32_e32 v99, 0x3f5db3d7, v122
	v_mul_f32_e32 v117, 0xbf5db3d7, v57
	v_fmac_f32_e32 v106, 0x3f5db3d7, v108
	v_fmac_f32_e32 v63, 0x3f5db3d7, v61
	v_fmac_f32_e32 v79, 0.5, v58
	v_mul_f32_e32 v118, -0.5, v108
	v_fmac_f32_e32 v103, 0xbf5db3d7, v124
	v_fmac_f32_e32 v105, 0.5, v57
	v_fmac_f32_e32 v117, 0.5, v59
	v_add_f32_e32 v57, v62, v60
	v_add_f32_e32 v58, v9, v65
	v_sub_f32_e32 v59, v62, v60
	v_sub_f32_e32 v60, v9, v65
	v_add_f32_e32 v62, v107, v68
	v_sub_f32_e32 v64, v107, v68
	v_add_f32_e32 v65, v75, v70
	v_add_f32_e32 v66, v10, v72
	v_sub_f32_e32 v67, v75, v70
	v_sub_f32_e32 v68, v10, v72
	v_add_f32_e32 v70, v5, v73
	v_sub_f32_e32 v72, v5, v73
	;; [unrolled: 6-line block ×3, first 2 shown]
	v_add_f32_e32 v106, v132, v112
	v_add_f32_e32 v4, v101, v115
	v_fmac_f32_e32 v118, 0xbf5db3d7, v110
	v_add_f32_e32 v61, v8, v63
	v_sub_f32_e32 v63, v8, v63
	v_add_f32_e32 v74, v78, v79
	v_add_f32_e32 v11, v7, v103
	v_sub_f32_e32 v76, v78, v79
	v_sub_f32_e32 v78, v7, v103
	v_add_f32_e32 v8, v100, v105
	v_sub_f32_e32 v99, v101, v115
	v_add_f32_e32 v79, v129, v136
	;; [unrolled: 2-line block ×3, first 2 shown]
	v_add_f32_e32 v105, v135, v113
	v_add_f32_e32 v110, v38, v132
	v_fmac_f32_e32 v38, -0.5, v106
	v_sub_f32_e32 v106, v135, v113
	v_add_f32_e32 v69, v109, v71
	v_sub_f32_e32 v71, v109, v71
	v_add_f32_e32 v5, v104, v116
	v_sub_f32_e32 v100, v104, v116
	v_fma_f32 v55, -0.5, v79, v55
	v_sub_f32_e32 v79, v128, v134
	v_add_f32_e32 v107, v103, v136
	v_add_f32_e32 v103, v56, v128
	;; [unrolled: 1-line block ×3, first 2 shown]
	v_fmac_f32_e32 v39, -0.5, v105
	v_sub_f32_e32 v105, v132, v112
	v_fmamk_f32 v116, v106, 0xbf5db3d7, v38
	v_add_f32_e32 v104, v128, v134
	v_fmamk_f32 v108, v79, 0x3f5db3d7, v55
	v_fmac_f32_e32 v55, 0xbf5db3d7, v79
	v_add_f32_e32 v79, v103, v134
	v_fmamk_f32 v103, v105, 0x3f5db3d7, v39
	v_fmac_f32_e32 v39, 0xbf5db3d7, v105
	v_add_f32_e32 v109, v109, v113
	v_fmac_f32_e32 v38, 0x3f5db3d7, v106
	v_mul_f32_e32 v113, 0x3f5db3d7, v116
	v_add_f32_e32 v9, v102, v117
	v_add_f32_e32 v7, v44, v118
	v_sub_f32_e32 v102, v102, v117
	v_sub_f32_e32 v44, v44, v118
	v_fmac_f32_e32 v56, -0.5, v104
	v_sub_f32_e32 v104, v129, v136
	v_mul_f32_e32 v117, -0.5, v39
	v_add_f32_e32 v110, v110, v112
	v_mul_f32_e32 v112, 0xbf5db3d7, v103
	v_mul_f32_e32 v118, -0.5, v38
	v_fmac_f32_e32 v113, 0.5, v103
	v_fmamk_f32 v115, v104, 0xbf5db3d7, v56
	v_fmac_f32_e32 v117, 0x3f5db3d7, v38
	v_add_f32_e32 v38, v107, v109
	v_fmac_f32_e32 v112, 0.5, v116
	v_fmac_f32_e32 v118, 0xbf5db3d7, v39
	v_add_f32_e32 v103, v108, v113
	v_add_f32_e32 v39, v79, v110
	v_sub_f32_e32 v107, v107, v109
	v_add_f32_e32 v116, v42, v40
	v_sub_f32_e32 v109, v108, v113
	v_sub_f32_e32 v108, v79, v110
	v_add_f32_e32 v79, v0, v42
	v_fmac_f32_e32 v56, 0x3f5db3d7, v104
	v_add_f32_e32 v104, v115, v112
	v_fma_f32 v0, -0.5, v116, v0
	v_sub_f32_e32 v110, v115, v112
	v_add_f32_e32 v112, v111, v33
	v_add_f32_e32 v79, v79, v40
	;; [unrolled: 1-line block ×3, first 2 shown]
	v_sub_f32_e32 v40, v42, v40
	v_add_f32_e32 v42, v34, v41
	v_sub_f32_e32 v113, v111, v33
	v_add_f32_e32 v111, v1, v111
	v_fmac_f32_e32 v1, -0.5, v112
	v_add_f32_e32 v112, v35, v37
	v_fmac_f32_e32 v35, -0.5, v116
	v_sub_f32_e32 v116, v34, v41
	v_add_f32_e32 v34, v36, v34
	v_fmac_f32_e32 v36, -0.5, v42
	v_sub_f32_e32 v37, v37, v114
	v_add_f32_e32 v42, v111, v33
	v_fmamk_f32 v33, v116, 0x3f5db3d7, v35
	v_add_f32_e32 v106, v56, v118
	v_sub_f32_e32 v56, v56, v118
	v_fmamk_f32 v111, v37, 0xbf5db3d7, v36
	v_fmac_f32_e32 v36, 0x3f5db3d7, v37
	v_fmamk_f32 v115, v113, 0x3f5db3d7, v0
	v_fmac_f32_e32 v35, 0xbf5db3d7, v116
	v_add_f32_e32 v112, v112, v114
	v_mul_f32_e32 v37, 0x3f5db3d7, v111
	v_mul_f32_e32 v118, 0xbf5db3d7, v33
	v_mul_f32_e32 v119, -0.5, v36
	v_fmac_f32_e32 v0, 0xbf5db3d7, v113
	v_mul_f32_e32 v114, -0.5, v35
	v_fmac_f32_e32 v37, 0.5, v33
	v_add_f32_e32 v33, v79, v112
	v_fmac_f32_e32 v118, 0.5, v111
	v_fmac_f32_e32 v119, 0xbf5db3d7, v35
	v_sub_f32_e32 v111, v79, v112
	v_add_f32_e32 v35, v115, v37
	v_sub_f32_e32 v113, v115, v37
	v_mov_b32_e32 v37, 0x1e0
	v_mov_b32_e32 v79, 3
	s_barrier
	buffer_gl0_inv
	v_mul_u32_u24_sdwa v31, v31, v37 dst_sel:DWORD dst_unused:UNUSED_PAD src0_sel:WORD_0 src1_sel:DWORD
	v_lshlrev_b32_sdwa v32, v79, v32 dst_sel:DWORD dst_unused:UNUSED_PAD src0_sel:DWORD src1_sel:BYTE_0
	v_mul_u32_u24_sdwa v27, v27, v37 dst_sel:DWORD dst_unused:UNUSED_PAD src0_sel:WORD_0 src1_sel:DWORD
	v_lshlrev_b32_sdwa v28, v79, v28 dst_sel:DWORD dst_unused:UNUSED_PAD src0_sel:DWORD src1_sel:BYTE_0
	;; [unrolled: 2-line block ×3, first 2 shown]
	v_add3_u32 v31, 0, v31, v32
	ds_write2_b64 v31, v[45:46], v[57:58] offset1:10
	ds_write2_b64 v31, v[61:62], v[47:48] offset0:20 offset1:30
	v_add3_u32 v27, 0, v27, v28
	v_add3_u32 v25, 0, v25, v26
	ds_write2_b64 v31, v[59:60], v[63:64] offset0:40 offset1:50
	ds_write2_b64 v27, v[49:50], v[65:66] offset1:10
	ds_write2_b64 v27, v[69:70], v[51:52] offset0:20 offset1:30
	ds_write2_b64 v27, v[67:68], v[71:72] offset0:40 offset1:50
	ds_write2_b64 v25, v[53:54], v[73:74] offset1:10
	v_mul_u32_u24_sdwa v26, v29, v37 dst_sel:DWORD dst_unused:UNUSED_PAD src0_sel:WORD_0 src1_sel:DWORD
	v_lshlrev_b32_sdwa v27, v79, v30 dst_sel:DWORD dst_unused:UNUSED_PAD src0_sel:DWORD src1_sel:BYTE_0
	v_mov_b32_e32 v46, 0x8889
	ds_write2_b64 v25, v[10:11], v[2:3] offset0:20 offset1:30
	ds_write2_b64 v25, v[75:76], v[77:78] offset0:40 offset1:50
	v_lshrrev_b16 v10, 13, v20
	v_mul_u32_u24_e32 v11, 0x1e0, v21
	v_add3_u32 v2, 0, v26, v27
	v_mul_u32_u24_sdwa v3, v17, v46 dst_sel:DWORD dst_unused:UNUSED_PAD src0_sel:WORD_0 src1_sel:DWORD
	v_lshlrev_b32_sdwa v20, v79, v22 dst_sel:DWORD dst_unused:UNUSED_PAD src0_sel:DWORD src1_sel:WORD_0
	v_add_f32_e32 v105, v55, v117
	v_sub_f32_e32 v55, v55, v117
	ds_write2_b64 v2, v[4:5], v[8:9] offset1:10
	v_lshrrev_b32_e32 v3, 21, v3
	v_mul_lo_u16 v4, v10, 60
	v_add3_u32 v5, 0, v11, v20
	v_fmamk_f32 v117, v40, 0xbf5db3d7, v1
	v_add_f32_e32 v116, v34, v41
	v_mul_lo_u16 v3, v3, 60
	v_sub_nc_u16 v4, v90, v4
	ds_write2_b64 v2, v[6:7], v[99:100] offset0:20 offset1:30
	v_mul_u32_u24_e32 v6, 0x1e0, v23
	v_lshlrev_b32_sdwa v7, v79, v24 dst_sel:DWORD dst_unused:UNUSED_PAD src0_sel:DWORD src1_sel:WORD_0
	ds_write2_b64 v2, v[101:102], v[43:44] offset0:40 offset1:50
	ds_write2_b64 v5, v[38:39], v[103:104] offset1:10
	v_sub_nc_u16 v2, v17, v3
	v_and_b32_e32 v11, 0xff, v4
	v_fmac_f32_e32 v1, 0x3f5db3d7, v40
	v_fmac_f32_e32 v114, 0x3f5db3d7, v36
	v_add_f32_e32 v34, v42, v116
	v_add_f32_e32 v36, v117, v118
	v_add3_u32 v3, 0, v6, v7
	v_and_b32_e32 v10, 0xffff, v2
	v_mul_u32_u24_e32 v2, 5, v11
	v_add_f32_e32 v40, v0, v114
	v_add_f32_e32 v41, v1, v119
	v_sub_f32_e32 v112, v42, v116
	v_sub_f32_e32 v0, v0, v114
	;; [unrolled: 1-line block ×4, first 2 shown]
	ds_write2_b64 v5, v[105:106], v[107:108] offset0:20 offset1:30
	ds_write2_b64 v5, v[109:110], v[55:56] offset0:40 offset1:50
	ds_write2_b64 v3, v[33:34], v[35:36] offset1:10
	ds_write2_b64 v3, v[40:41], v[111:112] offset0:20 offset1:30
	ds_write2_b64 v3, v[113:114], v[0:1] offset0:40 offset1:50
	v_mul_u32_u24_e32 v0, 5, v10
	v_lshlrev_b32_e32 v1, 3, v2
	v_mul_lo_u16 v2, 0x89, v18
	s_waitcnt lgkmcnt(0)
	s_barrier
	buffer_gl0_inv
	v_lshlrev_b32_e32 v0, 3, v0
	s_clause 0x1
	global_load_dwordx4 v[21:24], v1, s[8:9] offset:400
	global_load_dwordx4 v[30:33], v1, s[8:9] offset:416
	v_lshrrev_b16 v2, 13, v2
	v_mov_b32_e32 v8, 0
	s_clause 0x1
	global_load_dwordx4 v[26:29], v0, s[8:9] offset:400
	global_load_dwordx4 v[34:37], v0, s[8:9] offset:416
	v_mul_lo_u16 v2, v2, 60
	v_sub_nc_u16 v2, v91, v2
	v_and_b32_e32 v20, 0xff, v2
	v_mul_u32_u24_e32 v2, 5, v80
	v_mul_u32_u24_e32 v3, 5, v20
	v_lshlrev_b32_e32 v9, 3, v2
	v_lshlrev_b32_e32 v2, 3, v3
	s_clause 0x1
	global_load_dwordx4 v[38:41], v9, s[8:9] offset:400
	global_load_dwordx4 v[42:45], v2, s[8:9] offset:400
	v_mul_u32_u24_sdwa v3, v19, v46 dst_sel:DWORD dst_unused:UNUSED_PAD src0_sel:WORD_0 src1_sel:DWORD
	s_clause 0x3
	global_load_dwordx4 v[46:49], v9, s[8:9] offset:416
	global_load_dwordx4 v[50:53], v2, s[8:9] offset:416
	global_load_dwordx2 v[78:79], v1, s[8:9] offset:432
	global_load_dwordx2 v[111:112], v0, s[8:9] offset:432
	v_lshrrev_b32_e32 v3, 21, v3
	v_mul_lo_u16 v3, v3, 60
	v_sub_nc_u16 v3, v19, v3
	v_and_b32_e32 v18, 0xffff, v3
	v_mul_u32_u24_e32 v1, 5, v18
	v_lshlrev_b32_e32 v0, 3, v1
	s_clause 0x4
	global_load_dwordx4 v[54:57], v0, s[8:9] offset:400
	global_load_dwordx2 v[113:114], v9, s[8:9] offset:432
	global_load_dwordx2 v[115:116], v2, s[8:9] offset:432
	global_load_dwordx4 v[58:61], v0, s[8:9] offset:416
	global_load_dwordx2 v[117:118], v0, s[8:9] offset:432
	ds_read2_b64 v[62:65], v85 offset0:28 offset1:88
	ds_read2_b64 v[66:69], v81 offset0:132 offset1:192
	ds_read2_b64 v[4:7], v93 offset1:240
	ds_read2_b64 v[0:3], v95 offset0:44 offset1:104
	ds_read2_b64 v[70:73], v85 offset0:148 offset1:208
	ds_read2_b64 v[74:77], v98 offset0:124 offset1:184
	ds_read2_b64 v[99:102], v83 offset0:100 offset1:160
	ds_read2_b64 v[103:106], v16 offset0:108 offset1:168
	ds_read2_b64 v[107:110], v89 offset0:84 offset1:144
	s_waitcnt vmcnt(14) lgkmcnt(8)
	v_mul_f32_e32 v25, v63, v22
	v_mul_f32_e32 v119, v62, v22
	s_waitcnt lgkmcnt(7)
	v_mul_f32_e32 v22, v67, v24
	v_mul_f32_e32 v120, v66, v24
	s_waitcnt vmcnt(12)
	v_mul_f32_e32 v24, v65, v27
	v_mul_f32_e32 v19, v64, v27
	;; [unrolled: 1-line block ×3, first 2 shown]
	v_fma_f32 v122, v66, v23, -v22
	v_mul_f32_e32 v22, v69, v29
	v_fma_f32 v121, v62, v21, -v25
	v_fmac_f32_e32 v119, v63, v21
	v_fmac_f32_e32 v120, v67, v23
	v_fma_f32 v21, v64, v26, -v24
	v_fmac_f32_e32 v19, v65, v26
	ds_read2_b64 v[62:65], v95 offset0:164 offset1:224
	v_fma_f32 v27, v68, v28, -v22
	v_fmac_f32_e32 v123, v69, v28
	ds_read2_b64 v[66:69], v81 offset0:12 offset1:72
	s_waitcnt lgkmcnt(3)
	v_mul_f32_e32 v23, v104, v31
	v_mul_f32_e32 v124, v103, v31
	s_waitcnt lgkmcnt(2)
	v_mul_f32_e32 v24, v108, v33
	v_mul_f32_e32 v125, v107, v33
	s_waitcnt vmcnt(11)
	v_mul_f32_e32 v25, v106, v35
	v_mul_f32_e32 v22, v105, v35
	v_fma_f32 v103, v103, v30, -v23
	v_fmac_f32_e32 v124, v104, v30
	v_fma_f32 v104, v107, v32, -v24
	v_fmac_f32_e32 v125, v108, v32
	v_mul_f32_e32 v23, v110, v37
	v_mul_f32_e32 v24, v109, v37
	v_fma_f32 v26, v105, v34, -v25
	v_fmac_f32_e32 v22, v106, v34
	ds_read2_b64 v[28:31], v97 offset0:116 offset1:176
	ds_read2_b64 v[32:35], v96 offset0:92 offset1:152
	v_fma_f32 v105, v109, v36, -v23
	v_fmac_f32_e32 v24, v110, v36
	s_waitcnt vmcnt(10) lgkmcnt(3)
	v_mul_f32_e32 v106, v62, v39
	s_waitcnt vmcnt(9)
	v_mul_f32_e32 v25, v65, v43
	v_mul_f32_e32 v107, v64, v43
	s_waitcnt lgkmcnt(2)
	v_mul_f32_e32 v36, v69, v45
	v_mul_f32_e32 v108, v68, v45
	;; [unrolled: 1-line block ×3, first 2 shown]
	v_fmac_f32_e32 v106, v63, v38
	v_fma_f32 v63, v64, v42, -v25
	v_fmac_f32_e32 v107, v65, v42
	v_mul_f32_e32 v64, v66, v41
	v_fma_f32 v65, v68, v44, -v36
	v_fmac_f32_e32 v108, v69, v44
	ds_read2_b64 v[42:45], v94 offset0:188 offset1:248
	v_fma_f32 v62, v62, v38, -v23
	v_mul_f32_e32 v23, v67, v41
	v_mul_f32_e32 v25, v39, v3
	;; [unrolled: 1-line block ×3, first 2 shown]
	v_fmac_f32_e32 v64, v67, v40
	v_mul_f32_e32 v67, v41, v72
	v_fma_f32 v66, v66, v40, -v23
	v_mul_f32_e32 v23, v41, v73
	s_waitcnt vmcnt(8) lgkmcnt(2)
	v_mul_f32_e32 v36, v29, v47
	v_mul_f32_e32 v69, v28, v47
	v_fma_f32 v109, v38, v2, -v25
	v_fmac_f32_e32 v68, v38, v3
	v_fmac_f32_e32 v67, v40, v73
	s_waitcnt vmcnt(7)
	v_mul_f32_e32 v2, v31, v51
	v_mul_f32_e32 v73, v30, v51
	s_waitcnt lgkmcnt(1)
	v_mul_f32_e32 v3, v35, v53
	v_mul_f32_e32 v110, v34, v53
	v_fma_f32 v51, v28, v46, -v36
	v_fmac_f32_e32 v69, v29, v46
	v_fma_f32 v126, v30, v50, -v2
	v_fmac_f32_e32 v73, v31, v50
	;; [unrolled: 2-line block ×3, first 2 shown]
	ds_read2_b64 v[28:31], v15 offset0:76 offset1:136
	ds_read2_b64 v[34:37], v94 offset0:68 offset1:128
	v_fma_f32 v72, v40, v72, -v23
	s_waitcnt vmcnt(6) lgkmcnt(2)
	v_mul_f32_e32 v2, v43, v79
	v_mul_f32_e32 v79, v42, v79
	s_waitcnt vmcnt(5)
	v_mul_f32_e32 v3, v45, v112
	v_mul_f32_e32 v23, v33, v49
	;; [unrolled: 1-line block ×4, first 2 shown]
	v_fma_f32 v128, v42, v78, -v2
	v_fmac_f32_e32 v79, v43, v78
	v_fma_f32 v78, v44, v111, -v3
	v_fma_f32 v44, v32, v48, -v23
	v_fmac_f32_e32 v50, v33, v48
	ds_read_b64 v[32:33], v93 offset:16800
	v_fmac_f32_e32 v112, v45, v111
	v_mul_f32_e32 v23, v77, v47
	v_mul_f32_e32 v45, v76, v47
	;; [unrolled: 1-line block ×4, first 2 shown]
	s_waitcnt vmcnt(4)
	v_mul_f32_e32 v3, v71, v55
	v_mul_f32_e32 v2, v70, v55
	;; [unrolled: 1-line block ×4, first 2 shown]
	v_fma_f32 v52, v76, v46, -v23
	s_waitcnt vmcnt(2) lgkmcnt(1)
	v_mul_f32_e32 v23, v37, v116
	v_fma_f32 v47, v101, v48, -v47
	v_fmac_f32_e32 v49, v102, v48
	v_mul_f32_e32 v48, v30, v114
	v_mul_f32_e32 v53, v35, v114
	v_fma_f32 v3, v70, v54, -v3
	v_fmac_f32_e32 v2, v71, v54
	v_fmac_f32_e32 v45, v77, v46
	v_fma_f32 v25, v74, v56, -v25
	v_fmac_f32_e32 v111, v75, v56
	v_mul_f32_e32 v46, v31, v114
	v_mul_f32_e32 v54, v36, v116
	;; [unrolled: 1-line block ×3, first 2 shown]
	v_fma_f32 v56, v36, v115, -v23
	s_waitcnt vmcnt(1)
	v_mul_f32_e32 v36, v100, v59
	v_fma_f32 v53, v34, v113, -v53
	v_mul_f32_e32 v34, v29, v61
	v_fmac_f32_e32 v48, v31, v113
	v_add_f32_e32 v31, v72, v47
	v_fmac_f32_e32 v55, v35, v113
	v_mul_f32_e32 v102, v28, v61
	s_waitcnt vmcnt(0) lgkmcnt(0)
	v_mul_f32_e32 v35, v33, v118
	v_fma_f32 v30, v30, v113, -v46
	v_fma_f32 v113, v99, v58, -v36
	;; [unrolled: 1-line block ×3, first 2 shown]
	v_add_f32_e32 v28, v4, v72
	v_fma_f32 v36, -0.5, v31, v4
	v_add_f32_e32 v4, v67, v49
	v_fmac_f32_e32 v54, v37, v115
	v_mul_f32_e32 v23, v32, v118
	v_fma_f32 v115, v32, v117, -v35
	v_add_f32_e32 v32, v28, v47
	v_add_f32_e32 v28, v5, v67
	;; [unrolled: 1-line block ×3, first 2 shown]
	v_fma_f32 v37, -0.5, v4, v5
	v_add_f32_e32 v5, v45, v48
	v_fmac_f32_e32 v102, v29, v60
	v_sub_f32_e32 v29, v67, v49
	v_add_f32_e32 v34, v109, v52
	v_fmac_f32_e32 v109, -0.5, v31
	v_sub_f32_e32 v31, v45, v48
	v_add_f32_e32 v35, v68, v45
	v_fmac_f32_e32 v68, -0.5, v5
	v_sub_f32_e32 v5, v52, v30
	ds_read_b64 v[38:39], v14
	ds_read_b64 v[40:41], v13
	;; [unrolled: 1-line block ×3, first 2 shown]
	v_fmac_f32_e32 v23, v33, v117
	v_fmamk_f32 v33, v29, 0x3f5db3d7, v36
	v_fmac_f32_e32 v36, 0xbf5db3d7, v29
	v_add_f32_e32 v45, v28, v49
	v_fmamk_f32 v28, v31, 0x3f5db3d7, v109
	v_fmamk_f32 v29, v5, 0xbf5db3d7, v68
	v_sub_f32_e32 v4, v72, v47
	v_fmac_f32_e32 v68, 0x3f5db3d7, v5
	v_add_f32_e32 v35, v35, v48
	v_mul_f32_e32 v48, 0xbf5db3d7, v28
	v_mul_f32_e32 v47, 0x3f5db3d7, v29
	v_fmamk_f32 v46, v4, 0xbf5db3d7, v37
	v_fmac_f32_e32 v109, 0xbf5db3d7, v31
	v_add_f32_e32 v34, v34, v30
	v_mul_f32_e32 v52, -0.5, v68
	v_fmac_f32_e32 v47, 0.5, v28
	v_fmac_f32_e32 v48, 0.5, v29
	v_fmac_f32_e32 v37, 0x3f5db3d7, v4
	v_mul_f32_e32 v49, -0.5, v109
	v_add_f32_e32 v4, v32, v34
	v_fmac_f32_e32 v52, 0xbf5db3d7, v109
	v_add_f32_e32 v28, v33, v47
	v_add_f32_e32 v5, v45, v35
	;; [unrolled: 1-line block ×3, first 2 shown]
	v_sub_f32_e32 v32, v32, v34
	v_sub_f32_e32 v34, v33, v47
	;; [unrolled: 1-line block ×3, first 2 shown]
	s_waitcnt lgkmcnt(2)
	v_add_f32_e32 v45, v38, v66
	v_sub_f32_e32 v35, v46, v48
	v_add_f32_e32 v46, v64, v50
	v_mul_f32_e32 v101, v99, v59
	v_fmac_f32_e32 v49, 0x3f5db3d7, v68
	v_add_f32_e32 v31, v37, v52
	v_add_f32_e32 v57, v66, v44
	v_sub_f32_e32 v37, v37, v52
	v_add_f32_e32 v52, v45, v44
	v_add_f32_e32 v45, v39, v64
	v_add_f32_e32 v48, v51, v53
	v_fmac_f32_e32 v39, -0.5, v46
	v_add_f32_e32 v46, v69, v55
	v_fmac_f32_e32 v101, v100, v58
	v_add_f32_e32 v30, v36, v49
	v_sub_f32_e32 v36, v36, v49
	v_fma_f32 v38, -0.5, v57, v38
	v_sub_f32_e32 v47, v64, v50
	v_add_f32_e32 v49, v62, v51
	v_fmac_f32_e32 v62, -0.5, v48
	v_sub_f32_e32 v48, v69, v55
	v_add_f32_e32 v58, v106, v69
	v_fmac_f32_e32 v106, -0.5, v46
	v_sub_f32_e32 v46, v51, v53
	v_fmamk_f32 v57, v47, 0x3f5db3d7, v38
	v_fmac_f32_e32 v38, 0xbf5db3d7, v47
	v_add_f32_e32 v51, v45, v50
	v_fmamk_f32 v45, v48, 0x3f5db3d7, v62
	v_fmamk_f32 v47, v46, 0xbf5db3d7, v106
	v_fmac_f32_e32 v106, 0x3f5db3d7, v46
	v_sub_f32_e32 v44, v66, v44
	v_fmac_f32_e32 v62, 0xbf5db3d7, v48
	v_add_f32_e32 v50, v49, v53
	v_mul_f32_e32 v53, 0x3f5db3d7, v47
	v_add_f32_e32 v55, v58, v55
	v_mul_f32_e32 v58, 0xbf5db3d7, v45
	v_mul_f32_e32 v61, -0.5, v106
	v_fmamk_f32 v59, v44, 0xbf5db3d7, v39
	v_mul_f32_e32 v60, -0.5, v62
	v_fmac_f32_e32 v53, 0.5, v45
	v_fmac_f32_e32 v58, 0.5, v47
	v_fmac_f32_e32 v61, 0xbf5db3d7, v62
	v_add_f32_e32 v62, v65, v127
	v_fmac_f32_e32 v39, 0x3f5db3d7, v44
	v_fmac_f32_e32 v60, 0x3f5db3d7, v106
	v_add_f32_e32 v44, v52, v50
	v_add_f32_e32 v46, v57, v53
	;; [unrolled: 1-line block ×4, first 2 shown]
	v_sub_f32_e32 v50, v52, v50
	v_sub_f32_e32 v52, v57, v53
	;; [unrolled: 1-line block ×3, first 2 shown]
	s_waitcnt lgkmcnt(1)
	v_add_f32_e32 v55, v40, v65
	v_fma_f32 v40, -0.5, v62, v40
	v_sub_f32_e32 v53, v59, v58
	v_add_f32_e32 v58, v108, v110
	v_add_f32_e32 v59, v126, v56
	;; [unrolled: 1-line block ×4, first 2 shown]
	v_sub_f32_e32 v38, v38, v60
	v_sub_f32_e32 v57, v108, v110
	v_add_f32_e32 v60, v55, v127
	v_add_f32_e32 v55, v41, v108
	v_fmac_f32_e32 v41, -0.5, v58
	v_sub_f32_e32 v58, v65, v127
	v_add_f32_e32 v64, v63, v126
	v_fmac_f32_e32 v63, -0.5, v59
	v_sub_f32_e32 v59, v73, v54
	;; [unrolled: 3-line block ×3, first 2 shown]
	v_add_f32_e32 v49, v39, v61
	v_sub_f32_e32 v39, v39, v61
	v_fmamk_f32 v61, v57, 0x3f5db3d7, v40
	v_fmac_f32_e32 v40, 0xbf5db3d7, v57
	v_add_f32_e32 v66, v55, v110
	v_fmamk_f32 v55, v59, 0x3f5db3d7, v63
	v_fmamk_f32 v57, v62, 0xbf5db3d7, v107
	v_fmac_f32_e32 v63, 0xbf5db3d7, v59
	v_fmac_f32_e32 v107, 0x3f5db3d7, v62
	v_fmamk_f32 v67, v58, 0xbf5db3d7, v41
	v_mul_f32_e32 v69, 0xbf5db3d7, v55
	v_add_f32_e32 v64, v64, v56
	v_mul_f32_e32 v68, -0.5, v63
	v_mul_f32_e32 v70, -0.5, v107
	v_mul_f32_e32 v62, 0x3f5db3d7, v57
	v_fmac_f32_e32 v69, 0.5, v57
	v_fmac_f32_e32 v41, 0x3f5db3d7, v58
	v_fmac_f32_e32 v68, 0x3f5db3d7, v107
	;; [unrolled: 1-line block ×3, first 2 shown]
	v_add_f32_e32 v63, v122, v104
	v_add_f32_e32 v65, v65, v54
	v_fmac_f32_e32 v62, 0.5, v55
	v_add_f32_e32 v54, v60, v64
	v_add_f32_e32 v58, v40, v68
	;; [unrolled: 1-line block ×3, first 2 shown]
	v_sub_f32_e32 v60, v60, v64
	v_sub_f32_e32 v40, v40, v68
	s_waitcnt lgkmcnt(0)
	v_add_f32_e32 v64, v42, v122
	v_fma_f32 v42, -0.5, v63, v42
	v_sub_f32_e32 v63, v67, v69
	v_add_f32_e32 v67, v103, v128
	v_add_f32_e32 v68, v124, v79
	;; [unrolled: 1-line block ×5, first 2 shown]
	v_sub_f32_e32 v62, v61, v62
	v_sub_f32_e32 v61, v66, v65
	;; [unrolled: 1-line block ×4, first 2 shown]
	v_add_f32_e32 v70, v64, v104
	v_add_f32_e32 v64, v43, v120
	;; [unrolled: 1-line block ×3, first 2 shown]
	v_fmac_f32_e32 v121, -0.5, v67
	v_sub_f32_e32 v67, v124, v79
	v_add_f32_e32 v72, v119, v124
	v_fmac_f32_e32 v119, -0.5, v68
	v_sub_f32_e32 v68, v103, v128
	v_add_f32_e32 v66, v120, v125
	v_fmamk_f32 v71, v65, 0x3f5db3d7, v42
	v_fmac_f32_e32 v42, 0xbf5db3d7, v65
	v_add_f32_e32 v73, v64, v125
	v_fmamk_f32 v64, v67, 0x3f5db3d7, v121
	v_fmamk_f32 v65, v68, 0xbf5db3d7, v119
	v_fmac_f32_e32 v43, -0.5, v66
	v_sub_f32_e32 v66, v122, v104
	v_fmac_f32_e32 v119, 0x3f5db3d7, v68
	v_mul_f32_e32 v99, 0xbf5db3d7, v64
	v_mul_f32_e32 v76, 0x3f5db3d7, v65
	v_add_f32_e32 v79, v72, v79
	v_fmamk_f32 v74, v66, 0xbf5db3d7, v43
	v_fmac_f32_e32 v121, 0xbf5db3d7, v67
	v_fmac_f32_e32 v99, 0.5, v65
	v_fmac_f32_e32 v76, 0.5, v64
	v_fmac_f32_e32 v43, 0x3f5db3d7, v66
	v_add_f32_e32 v75, v69, v128
	v_mul_f32_e32 v100, -0.5, v119
	v_add_f32_e32 v65, v73, v79
	v_add_f32_e32 v66, v71, v76
	;; [unrolled: 1-line block ×3, first 2 shown]
	v_sub_f32_e32 v72, v71, v76
	v_sub_f32_e32 v71, v73, v79
	;; [unrolled: 1-line block ×3, first 2 shown]
	v_add_f32_e32 v74, v123, v24
	v_mul_f32_e32 v77, -0.5, v121
	v_add_f32_e32 v64, v70, v75
	v_fmac_f32_e32 v100, 0xbf5db3d7, v121
	v_sub_f32_e32 v70, v70, v75
	v_add_f32_e32 v75, v27, v105
	v_add_f32_e32 v79, v7, v123
	;; [unrolled: 1-line block ×3, first 2 shown]
	v_fmac_f32_e32 v7, -0.5, v74
	v_add_f32_e32 v74, v22, v112
	v_fmac_f32_e32 v77, 0x3f5db3d7, v119
	v_add_f32_e32 v69, v43, v100
	v_add_f32_e32 v76, v6, v27
	v_fma_f32 v6, -0.5, v75, v6
	v_sub_f32_e32 v75, v123, v24
	v_sub_f32_e32 v43, v43, v100
	v_add_f32_e32 v100, v21, v26
	v_fmac_f32_e32 v21, -0.5, v99
	v_sub_f32_e32 v99, v22, v112
	v_add_f32_e32 v22, v19, v22
	v_fmac_f32_e32 v19, -0.5, v74
	v_sub_f32_e32 v26, v26, v78
	v_add_f32_e32 v68, v42, v77
	v_sub_f32_e32 v42, v42, v77
	v_fmamk_f32 v77, v75, 0x3f5db3d7, v6
	v_fmac_f32_e32 v6, 0xbf5db3d7, v75
	v_fmamk_f32 v74, v99, 0x3f5db3d7, v21
	v_fmamk_f32 v75, v26, 0xbf5db3d7, v19
	v_fmac_f32_e32 v21, 0xbf5db3d7, v99
	v_fmac_f32_e32 v19, 0x3f5db3d7, v26
	v_add_f32_e32 v76, v76, v105
	v_sub_f32_e32 v27, v27, v105
	v_add_f32_e32 v78, v100, v78
	v_mul_f32_e32 v99, 0x3f5db3d7, v75
	v_mul_f32_e32 v100, -0.5, v21
	v_mul_f32_e32 v105, -0.5, v19
	v_add_f32_e32 v24, v79, v24
	v_fmamk_f32 v79, v27, 0xbf5db3d7, v7
	v_fmac_f32_e32 v7, 0x3f5db3d7, v27
	v_add_f32_e32 v103, v22, v112
	v_mul_f32_e32 v104, 0xbf5db3d7, v74
	v_fmac_f32_e32 v99, 0.5, v74
	v_fmac_f32_e32 v100, 0x3f5db3d7, v19
	v_fmac_f32_e32 v105, 0xbf5db3d7, v21
	v_add_f32_e32 v26, v76, v78
	v_fmac_f32_e32 v104, 0.5, v75
	v_add_f32_e32 v21, v77, v99
	v_add_f32_e32 v74, v6, v100
	v_add_f32_e32 v27, v24, v103
	v_add_f32_e32 v75, v7, v105
	v_sub_f32_e32 v76, v76, v78
	v_add_f32_e32 v19, v25, v114
	v_sub_f32_e32 v78, v77, v99
	v_sub_f32_e32 v99, v6, v100
	;; [unrolled: 1-line block ×4, first 2 shown]
	v_add_f32_e32 v7, v111, v102
	v_add_f32_e32 v103, v113, v115
	;; [unrolled: 1-line block ×3, first 2 shown]
	v_fma_f32 v0, -0.5, v19, v0
	v_sub_f32_e32 v19, v111, v102
	v_add_f32_e32 v24, v1, v111
	v_fmac_f32_e32 v1, -0.5, v7
	v_sub_f32_e32 v7, v25, v114
	v_add_f32_e32 v25, v101, v23
	v_add_f32_e32 v105, v3, v113
	v_fmac_f32_e32 v3, -0.5, v103
	v_sub_f32_e32 v103, v101, v23
	v_add_f32_e32 v22, v79, v104
	v_sub_f32_e32 v79, v79, v104
	v_fmamk_f32 v104, v19, 0x3f5db3d7, v0
	v_add_f32_e32 v101, v2, v101
	v_fmac_f32_e32 v2, -0.5, v25
	v_sub_f32_e32 v25, v113, v115
	v_fmac_f32_e32 v0, 0xbf5db3d7, v19
	v_add_f32_e32 v19, v24, v102
	v_fmamk_f32 v24, v103, 0x3f5db3d7, v3
	v_fmac_f32_e32 v3, 0xbf5db3d7, v103
	v_add_f32_e32 v6, v6, v114
	v_fmamk_f32 v106, v7, 0xbf5db3d7, v1
	v_fmamk_f32 v102, v25, 0xbf5db3d7, v2
	v_fmac_f32_e32 v1, 0x3f5db3d7, v7
	v_add_f32_e32 v7, v105, v115
	v_fmac_f32_e32 v2, 0x3f5db3d7, v25
	v_mul_f32_e32 v107, -0.5, v3
	s_barrier
	buffer_gl0_inv
	ds_write2_b64 v93, v[4:5], v[28:29] offset1:60
	ds_write2_b64 v93, v[30:31], v[32:33] offset0:120 offset1:180
	v_lshl_add_u32 v4, v20, 3, 0
	v_mul_f32_e32 v110, -0.5, v2
	v_fmac_f32_e32 v107, 0x3f5db3d7, v2
	v_add_f32_e32 v2, v6, v7
	v_sub_f32_e32 v103, v6, v7
	v_add_nc_u32_e32 v7, 0x1400, v4
	v_add_nc_u32_e32 v5, 0xc00, v93
	v_lshl_add_u32 v6, v11, 3, 0
	v_mul_f32_e32 v25, 0x3f5db3d7, v102
	v_mul_f32_e32 v109, 0xbf5db3d7, v24
	v_add_nc_u32_e32 v4, 0x1800, v4
	ds_write2_b64 v92, v[34:35], v[36:37] offset0:112 offset1:172
	ds_write2_b64 v95, v[44:45], v[46:47] offset0:104 offset1:164
	;; [unrolled: 1-line block ×3, first 2 shown]
	v_lshl_add_u32 v7, v10, 3, 0
	ds_write2_b64 v5, v[48:49], v[50:51] offset0:96 offset1:156
	v_add_nc_u32_e32 v5, 0x2000, v6
	v_add_f32_e32 v108, v101, v23
	v_fmac_f32_e32 v25, 0.5, v24
	v_fmac_f32_e32 v109, 0.5, v102
	v_lshl_add_u32 v10, v18, 3, 0
	v_fmac_f32_e32 v110, 0xbf5db3d7, v3
	ds_write2_b64 v85, v[52:53], v[38:39] offset0:88 offset1:148
	ds_write2_b64 v4, v[58:59], v[60:61] offset0:72 offset1:132
	;; [unrolled: 1-line block ×4, first 2 shown]
	v_add_nc_u32_e32 v4, 0x2800, v6
	v_add_nc_u32_e32 v6, 0x2800, v7
	;; [unrolled: 1-line block ×3, first 2 shown]
	v_mul_i32_i24_e32 v7, 5, v82
	v_add_f32_e32 v23, v104, v25
	v_add_f32_e32 v3, v19, v108
	v_add_f32_e32 v24, v106, v109
	ds_write2_b64 v5, v[68:69], v[70:71] offset0:176 offset1:236
	ds_write2_b64 v4, v[72:73], v[42:43] offset0:40 offset1:100
	;; [unrolled: 1-line block ×3, first 2 shown]
	v_add_nc_u32_e32 v4, 0x3800, v10
	v_add_f32_e32 v101, v0, v107
	v_add_f32_e32 v102, v1, v110
	v_sub_f32_e32 v105, v104, v25
	v_sub_f32_e32 v104, v19, v108
	;; [unrolled: 1-line block ×5, first 2 shown]
	v_add_nc_u32_e32 v5, 0x3c00, v10
	ds_write2_b64 v11, v[74:75], v[76:77] offset0:24 offset1:84
	ds_write2_b64 v11, v[78:79], v[99:100] offset0:144 offset1:204
	;; [unrolled: 1-line block ×5, first 2 shown]
	v_lshlrev_b64 v[0:1], 3, v[7:8]
	v_mul_i32_i24_e32 v7, 5, v91
	s_waitcnt lgkmcnt(0)
	s_barrier
	buffer_gl0_inv
	v_add_co_u32 v4, s0, s8, v0
	v_add_co_ci_u32_e64 v5, s0, s9, v1, s0
	v_lshlrev_b64 v[0:1], 3, v[7:8]
	v_add_co_u32 v2, s0, 0x800, v4
	v_add_co_ci_u32_e64 v3, s0, 0, v5, s0
	v_mul_i32_i24_e32 v7, 5, v90
	v_add_co_u32 v6, s0, s8, v0
	v_add_co_ci_u32_e64 v10, s0, s9, v1, s0
	global_load_dwordx4 v[18:21], v[2:3], off offset:752
	v_add_co_u32 v0, s0, 0x800, v6
	v_add_co_ci_u32_e64 v1, s0, 0, v10, s0
	global_load_dwordx4 v[22:25], v[0:1], off offset:752
	v_add_co_u32 v0, s0, 0xaf0, v4
	v_add_co_ci_u32_e64 v1, s0, 0, v5, s0
	v_lshlrev_b64 v[4:5], 3, v[7:8]
	v_add_co_u32 v2, s0, 0xaf0, v6
	v_mul_u32_u24_e32 v6, 5, v17
	v_add_co_ci_u32_e64 v3, s0, 0, v10, s0
	v_add_co_u32 v7, s0, s8, v4
	v_add_co_ci_u32_e64 v10, s0, s9, v5, s0
	v_lshlrev_b32_e32 v6, 3, v6
	v_add_co_u32 v4, s0, 0x800, v7
	v_add_co_ci_u32_e64 v5, s0, 0, v10, s0
	v_add_co_u32 v6, s0, s8, v6
	s_clause 0x1
	global_load_dwordx4 v[26:29], v[0:1], off offset:16
	global_load_dwordx4 v[30:33], v[2:3], off offset:16
	v_add_co_ci_u32_e64 v11, null, s9, 0, s0
	global_load_dwordx4 v[34:37], v[4:5], off offset:752
	v_add_co_u32 v4, s0, 0x800, v6
	v_add_co_ci_u32_e64 v5, s0, 0, v11, s0
	v_add_co_u32 v9, s0, s8, v9
	v_add_co_ci_u32_e64 v17, null, s9, 0, s0
	global_load_dwordx4 v[38:41], v[4:5], off offset:752
	v_add_co_u32 v4, s0, 0x800, v9
	v_add_co_ci_u32_e64 v5, s0, 0, v17, s0
	global_load_dwordx4 v[42:45], v[4:5], off offset:752
	v_add_co_u32 v4, s0, 0xaf0, v9
	v_add_co_ci_u32_e64 v5, s0, 0, v17, s0
	s_clause 0x1
	global_load_dwordx4 v[46:49], v[4:5], off offset:16
	global_load_dwordx2 v[78:79], v[0:1], off offset:32
	v_add_co_u32 v0, s0, 0xaf0, v7
	v_add_co_ci_u32_e64 v1, s0, 0, v10, s0
	s_clause 0x2
	global_load_dwordx2 v[111:112], v[2:3], off offset:32
	global_load_dwordx2 v[113:114], v[4:5], off offset:32
	global_load_dwordx4 v[50:53], v[0:1], off offset:16
	v_add_co_u32 v2, s0, 0xaf0, v6
	v_add_co_ci_u32_e64 v3, s0, 0, v11, s0
	s_clause 0x1
	global_load_dwordx4 v[54:57], v[2:3], off offset:16
	global_load_dwordx2 v[115:116], v[0:1], off offset:32
	v_add_co_u32 v0, s0, 0x1000, v6
	v_add_co_ci_u32_e64 v1, s0, 0, v11, s0
	s_clause 0x1
	global_load_dwordx2 v[117:118], v[2:3], off offset:32
	global_load_dwordx4 v[58:61], v[0:1], off offset:1104
	v_add_co_u32 v0, s0, 0x1450, v6
	v_add_co_ci_u32_e64 v1, s0, 0, v11, s0
	s_clause 0x1
	global_load_dwordx4 v[62:65], v[0:1], off offset:16
	global_load_dwordx2 v[119:120], v[0:1], off offset:32
	ds_read2_b64 v[66:69], v95 offset0:164 offset1:224
	ds_read2_b64 v[70:73], v81 offset0:12 offset1:72
	ds_read2_b64 v[4:7], v93 offset1:240
	ds_read2_b64 v[0:3], v95 offset0:44 offset1:104
	ds_read2_b64 v[74:77], v97 offset0:116 offset1:176
	;; [unrolled: 1-line block ×6, first 2 shown]
	s_waitcnt vmcnt(17) lgkmcnt(8)
	v_mul_f32_e32 v9, v67, v19
	s_waitcnt lgkmcnt(7)
	v_mul_f32_e32 v121, v70, v21
	v_fma_f32 v11, v66, v18, -v9
	v_mul_f32_e32 v66, v66, v19
	v_mul_f32_e32 v9, v71, v21
	v_fmac_f32_e32 v121, v71, v20
	s_waitcnt vmcnt(16)
	v_mul_f32_e32 v10, v69, v23
	v_mul_f32_e32 v122, v68, v23
	v_fmac_f32_e32 v66, v67, v18
	v_fma_f32 v67, v70, v20, -v9
	ds_read2_b64 v[17:20], v81 offset0:132 offset1:192
	v_mul_f32_e32 v9, v73, v25
	v_fma_f32 v68, v68, v22, -v10
	v_fmac_f32_e32 v122, v69, v22
	v_mul_f32_e32 v69, v72, v25
	v_fma_f32 v71, v72, v24, -v9
	v_fmac_f32_e32 v69, v73, v24
	ds_read2_b64 v[21:24], v83 offset0:100 offset1:160
	s_waitcnt vmcnt(15) lgkmcnt(6)
	v_mul_f32_e32 v10, v75, v27
	v_mul_f32_e32 v70, v74, v27
	s_waitcnt lgkmcnt(3)
	v_mul_f32_e32 v9, v96, v29
	v_mul_f32_e32 v73, v95, v29
	v_fma_f32 v72, v74, v26, -v10
	v_fmac_f32_e32 v70, v75, v26
	v_fma_f32 v74, v95, v28, -v9
	s_waitcnt vmcnt(14)
	v_mul_f32_e32 v9, v77, v31
	v_mul_f32_e32 v75, v76, v31
	;; [unrolled: 1-line block ×4, first 2 shown]
	v_fmac_f32_e32 v73, v96, v28
	v_fma_f32 v76, v76, v30, -v9
	v_fmac_f32_e32 v75, v77, v30
	v_fma_f32 v77, v97, v32, -v10
	v_fmac_f32_e32 v95, v98, v32
	s_waitcnt vmcnt(13) lgkmcnt(2)
	v_mul_f32_e32 v9, v108, v35
	s_waitcnt lgkmcnt(1)
	v_mul_f32_e32 v10, v18, v37
	v_mul_f32_e32 v97, v17, v37
	ds_read2_b64 v[29:32], v94 offset0:68 offset1:128
	ds_read2_b64 v[25:28], v15 offset0:76 offset1:136
	v_mul_f32_e32 v96, v107, v35
	v_fma_f32 v98, v107, v34, -v9
	v_fma_f32 v107, v17, v36, -v10
	v_fmac_f32_e32 v97, v18, v36
	ds_read2_b64 v[15:18], v16 offset0:108 offset1:168
	s_waitcnt vmcnt(12)
	v_mul_f32_e32 v9, v110, v39
	v_mul_f32_e32 v33, v20, v41
	s_waitcnt vmcnt(11)
	v_mul_f32_e32 v37, v43, v3
	v_fmac_f32_e32 v96, v108, v34
	v_mul_f32_e32 v10, v109, v39
	v_mul_f32_e32 v108, v19, v41
	v_fma_f32 v9, v109, v38, -v9
	v_fma_f32 v109, v19, v40, -v33
	ds_read2_b64 v[33:36], v89 offset0:84 offset1:144
	v_mul_f32_e32 v41, v43, v2
	v_mul_f32_e32 v19, v45, v102
	v_fma_f32 v43, v42, v2, -v37
	v_mul_f32_e32 v45, v45, v101
	s_waitcnt vmcnt(10)
	v_mul_f32_e32 v2, v106, v47
	v_fmac_f32_e32 v10, v110, v38
	v_fmac_f32_e32 v108, v20, v40
	;; [unrolled: 1-line block ×3, first 2 shown]
	v_fma_f32 v42, v44, v101, -v19
	v_mul_f32_e32 v47, v105, v47
	v_fmac_f32_e32 v45, v44, v102
	v_fma_f32 v44, v105, v46, -v2
	s_waitcnt lgkmcnt(4)
	v_mul_f32_e32 v2, v24, v49
	v_mul_f32_e32 v49, v23, v49
	s_waitcnt vmcnt(9) lgkmcnt(3)
	v_mul_f32_e32 v3, v30, v79
	ds_read2_b64 v[37:40], v94 offset0:188 offset1:248
	v_fmac_f32_e32 v47, v106, v46
	v_mul_f32_e32 v46, v29, v79
	v_fma_f32 v79, v23, v48, -v2
	v_fmac_f32_e32 v49, v24, v48
	v_fma_f32 v48, v29, v78, -v3
	s_waitcnt vmcnt(6) lgkmcnt(2)
	v_mul_f32_e32 v3, v16, v51
	v_mul_f32_e32 v2, v32, v112
	;; [unrolled: 1-line block ×4, first 2 shown]
	s_waitcnt vmcnt(5)
	v_mul_f32_e32 v102, v17, v55
	v_fma_f32 v101, v15, v50, -v3
	v_mul_f32_e32 v3, v18, v55
	v_mul_f32_e32 v29, v27, v114
	v_fma_f32 v94, v31, v111, -v2
	s_waitcnt lgkmcnt(1)
	v_mul_f32_e32 v2, v34, v53
	v_fmac_f32_e32 v51, v16, v50
	v_fma_f32 v105, v17, v54, -v3
	v_fmac_f32_e32 v102, v18, v54
	ds_read_b64 v[15:16], v14
	ds_read_b64 v[17:18], v13
	;; [unrolled: 1-line block ×3, first 2 shown]
	v_fma_f32 v27, v27, v113, -v23
	v_mul_f32_e32 v3, v36, v57
	ds_read_b64 v[23:24], v93 offset:16800
	v_fma_f32 v55, v33, v52, -v2
	s_waitcnt vmcnt(4) lgkmcnt(4)
	v_mul_f32_e32 v2, v38, v116
	v_fmac_f32_e32 v29, v28, v113
	v_fma_f32 v110, v35, v56, -v3
	s_waitcnt vmcnt(3)
	v_mul_f32_e32 v3, v40, v118
	s_waitcnt vmcnt(2)
	v_mul_f32_e32 v28, v100, v59
	v_fmac_f32_e32 v46, v30, v78
	v_mul_f32_e32 v78, v31, v112
	v_fma_f32 v54, v37, v115, -v2
	v_mul_f32_e32 v2, v99, v59
	v_fma_f32 v112, v39, v117, -v3
	;; [unrolled: 2-line block ×3, first 2 shown]
	v_mul_f32_e32 v99, v103, v61
	s_waitcnt vmcnt(1)
	v_mul_f32_e32 v28, v22, v63
	v_mul_f32_e32 v53, v33, v53
	v_fmac_f32_e32 v2, v100, v58
	v_fma_f32 v100, v103, v60, -v30
	v_mul_f32_e32 v103, v21, v63
	v_fmac_f32_e32 v99, v104, v60
	v_mul_f32_e32 v104, v25, v65
	v_fma_f32 v113, v21, v62, -v28
	v_add_f32_e32 v21, v42, v79
	v_fmac_f32_e32 v53, v34, v52
	v_mul_f32_e32 v52, v37, v116
	v_mul_f32_e32 v30, v26, v65
	v_fmac_f32_e32 v103, v22, v62
	v_fmac_f32_e32 v104, v26, v64
	s_waitcnt vmcnt(0) lgkmcnt(0)
	v_mul_f32_e32 v22, v24, v120
	v_fma_f32 v26, -0.5, v21, v4
	v_add_f32_e32 v21, v45, v49
	v_fmac_f32_e32 v52, v38, v115
	v_fma_f32 v114, v25, v64, -v30
	v_mul_f32_e32 v115, v23, v120
	v_fma_f32 v116, v23, v119, -v22
	v_add_f32_e32 v23, v44, v27
	v_fma_f32 v30, -0.5, v21, v5
	v_add_f32_e32 v21, v47, v29
	v_add_f32_e32 v25, v4, v42
	v_sub_f32_e32 v4, v45, v49
	v_fmac_f32_e32 v115, v24, v119
	v_add_f32_e32 v22, v5, v45
	v_add_f32_e32 v24, v43, v44
	v_fmac_f32_e32 v43, -0.5, v23
	v_sub_f32_e32 v23, v47, v29
	v_add_f32_e32 v31, v41, v47
	v_fmac_f32_e32 v41, -0.5, v21
	v_sub_f32_e32 v21, v44, v27
	v_fmac_f32_e32 v78, v32, v111
	v_fmamk_f32 v28, v4, 0x3f5db3d7, v26
	v_fmac_f32_e32 v26, 0xbf5db3d7, v4
	v_add_f32_e32 v32, v22, v49
	v_fmamk_f32 v4, v23, 0x3f5db3d7, v43
	v_fmamk_f32 v22, v21, 0xbf5db3d7, v41
	v_fmac_f32_e32 v43, 0xbf5db3d7, v23
	v_mul_f32_e32 v106, v35, v57
	v_fmac_f32_e32 v41, 0x3f5db3d7, v21
	v_add_f32_e32 v25, v25, v79
	v_mul_f32_e32 v34, 0x3f5db3d7, v22
	v_mul_f32_e32 v35, -0.5, v43
	v_fmac_f32_e32 v106, v36, v56
	v_sub_f32_e32 v5, v42, v79
	v_add_f32_e32 v27, v24, v27
	v_add_f32_e32 v31, v31, v29
	v_mul_f32_e32 v36, 0xbf5db3d7, v4
	v_mul_f32_e32 v37, -0.5, v41
	v_fmac_f32_e32 v34, 0.5, v4
	v_fmac_f32_e32 v35, 0x3f5db3d7, v41
	v_fmamk_f32 v33, v5, 0xbf5db3d7, v30
	v_fmac_f32_e32 v30, 0x3f5db3d7, v5
	v_add_f32_e32 v4, v25, v27
	v_fmac_f32_e32 v36, 0.5, v22
	v_fmac_f32_e32 v37, 0xbf5db3d7, v43
	v_add_f32_e32 v21, v28, v34
	v_add_f32_e32 v23, v26, v35
	;; [unrolled: 1-line block ×3, first 2 shown]
	v_sub_f32_e32 v25, v25, v27
	v_add_f32_e32 v38, v67, v74
	v_sub_f32_e32 v27, v28, v34
	v_sub_f32_e32 v29, v26, v35
	;; [unrolled: 1-line block ×3, first 2 shown]
	v_add_f32_e32 v31, v15, v67
	v_add_f32_e32 v34, v72, v48
	;; [unrolled: 1-line block ×3, first 2 shown]
	v_mul_f32_e32 v111, v39, v118
	v_add_f32_e32 v22, v33, v36
	v_add_f32_e32 v24, v30, v37
	v_fma_f32 v15, -0.5, v38, v15
	v_sub_f32_e32 v32, v121, v73
	v_sub_f32_e32 v28, v33, v36
	;; [unrolled: 1-line block ×3, first 2 shown]
	v_add_f32_e32 v37, v31, v74
	v_add_f32_e32 v31, v16, v121
	;; [unrolled: 1-line block ×3, first 2 shown]
	v_fmac_f32_e32 v11, -0.5, v34
	v_sub_f32_e32 v34, v70, v46
	v_add_f32_e32 v39, v66, v70
	v_fmac_f32_e32 v66, -0.5, v35
	v_sub_f32_e32 v35, v72, v48
	v_fmac_f32_e32 v111, v40, v117
	v_fmamk_f32 v38, v32, 0x3f5db3d7, v15
	v_fmac_f32_e32 v15, 0xbf5db3d7, v32
	v_add_f32_e32 v40, v31, v73
	v_fmamk_f32 v31, v34, 0x3f5db3d7, v11
	v_fmamk_f32 v32, v35, 0xbf5db3d7, v66
	v_fmac_f32_e32 v11, 0xbf5db3d7, v34
	v_add_f32_e32 v33, v121, v73
	v_fmac_f32_e32 v66, 0x3f5db3d7, v35
	v_add_f32_e32 v42, v36, v48
	v_mul_f32_e32 v43, 0x3f5db3d7, v32
	v_mul_f32_e32 v44, -0.5, v11
	v_fmac_f32_e32 v16, -0.5, v33
	v_sub_f32_e32 v33, v67, v74
	v_add_f32_e32 v45, v39, v46
	v_mul_f32_e32 v46, 0xbf5db3d7, v31
	v_mul_f32_e32 v47, -0.5, v66
	v_fmac_f32_e32 v43, 0.5, v31
	v_fmac_f32_e32 v44, 0x3f5db3d7, v66
	v_fmamk_f32 v41, v33, 0xbf5db3d7, v16
	v_fmac_f32_e32 v16, 0x3f5db3d7, v33
	v_add_f32_e32 v31, v37, v42
	v_fmac_f32_e32 v46, 0.5, v32
	v_fmac_f32_e32 v47, 0xbf5db3d7, v11
	v_add_f32_e32 v33, v38, v43
	v_add_f32_e32 v35, v15, v44
	v_sub_f32_e32 v37, v37, v42
	v_add_f32_e32 v11, v71, v77
	v_sub_f32_e32 v39, v38, v43
	v_sub_f32_e32 v15, v15, v44
	v_add_f32_e32 v42, v17, v71
	v_add_f32_e32 v43, v76, v94
	;; [unrolled: 1-line block ×6, first 2 shown]
	v_sub_f32_e32 v38, v40, v45
	v_fma_f32 v11, -0.5, v11, v17
	v_sub_f32_e32 v17, v69, v95
	v_sub_f32_e32 v40, v41, v46
	;; [unrolled: 1-line block ×3, first 2 shown]
	v_add_f32_e32 v47, v42, v77
	v_add_f32_e32 v42, v18, v69
	v_add_f32_e32 v45, v68, v76
	v_fmac_f32_e32 v68, -0.5, v43
	v_sub_f32_e32 v43, v75, v78
	v_add_f32_e32 v46, v122, v75
	v_fmac_f32_e32 v122, -0.5, v44
	v_sub_f32_e32 v44, v76, v94
	v_add_f32_e32 v41, v69, v95
	v_fmamk_f32 v48, v17, 0x3f5db3d7, v11
	v_fmac_f32_e32 v11, 0xbf5db3d7, v17
	v_add_f32_e32 v50, v42, v95
	v_fmamk_f32 v17, v43, 0x3f5db3d7, v68
	v_fmamk_f32 v42, v44, 0xbf5db3d7, v122
	v_fmac_f32_e32 v18, -0.5, v41
	v_sub_f32_e32 v41, v71, v77
	v_fmac_f32_e32 v68, 0xbf5db3d7, v43
	v_mul_f32_e32 v60, 0xbf5db3d7, v17
	v_mul_f32_e32 v57, 0x3f5db3d7, v42
	v_add_f32_e32 v49, v45, v94
	v_fmamk_f32 v56, v41, 0xbf5db3d7, v18
	v_fmac_f32_e32 v122, 0x3f5db3d7, v44
	v_add_f32_e32 v59, v46, v78
	v_fmac_f32_e32 v57, 0.5, v17
	v_fmac_f32_e32 v60, 0.5, v42
	v_fmac_f32_e32 v18, 0x3f5db3d7, v41
	v_mul_f32_e32 v58, -0.5, v68
	v_mul_f32_e32 v61, -0.5, v122
	v_add_f32_e32 v41, v47, v49
	v_add_f32_e32 v43, v48, v57
	;; [unrolled: 1-line block ×4, first 2 shown]
	v_sub_f32_e32 v47, v47, v49
	v_sub_f32_e32 v49, v48, v57
	;; [unrolled: 1-line block ×4, first 2 shown]
	v_add_f32_e32 v56, v97, v53
	v_fmac_f32_e32 v58, 0x3f5db3d7, v122
	v_fmac_f32_e32 v61, 0xbf5db3d7, v68
	v_add_f32_e32 v62, v107, v55
	v_add_f32_e32 v59, v20, v97
	;; [unrolled: 1-line block ×3, first 2 shown]
	v_fmac_f32_e32 v20, -0.5, v56
	v_add_f32_e32 v56, v51, v52
	v_add_f32_e32 v45, v11, v58
	;; [unrolled: 1-line block ×3, first 2 shown]
	v_sub_f32_e32 v17, v11, v58
	v_add_f32_e32 v11, v19, v107
	v_fma_f32 v19, -0.5, v62, v19
	v_sub_f32_e32 v57, v97, v53
	v_sub_f32_e32 v18, v18, v61
	v_add_f32_e32 v61, v98, v101
	v_fmac_f32_e32 v98, -0.5, v60
	v_sub_f32_e32 v60, v51, v52
	v_add_f32_e32 v51, v96, v51
	v_fmac_f32_e32 v96, -0.5, v56
	v_sub_f32_e32 v56, v101, v54
	v_fmamk_f32 v58, v57, 0x3f5db3d7, v19
	v_fmac_f32_e32 v19, 0xbf5db3d7, v57
	v_add_f32_e32 v62, v59, v53
	v_fmamk_f32 v53, v60, 0x3f5db3d7, v98
	v_fmamk_f32 v57, v56, 0xbf5db3d7, v96
	v_fmac_f32_e32 v98, 0xbf5db3d7, v60
	v_add_f32_e32 v11, v11, v55
	v_sub_f32_e32 v55, v107, v55
	v_add_f32_e32 v59, v61, v54
	v_fmac_f32_e32 v96, 0x3f5db3d7, v56
	v_mul_f32_e32 v60, 0x3f5db3d7, v57
	v_mul_f32_e32 v61, -0.5, v98
	v_mul_f32_e32 v65, 0xbf5db3d7, v53
	v_fmamk_f32 v63, v55, 0xbf5db3d7, v20
	v_add_f32_e32 v64, v51, v52
	v_fmac_f32_e32 v60, 0.5, v53
	v_fmac_f32_e32 v61, 0x3f5db3d7, v96
	v_fmac_f32_e32 v65, 0.5, v57
	v_fmac_f32_e32 v20, 0x3f5db3d7, v55
	v_mul_f32_e32 v66, -0.5, v96
	v_add_f32_e32 v51, v11, v59
	v_add_f32_e32 v53, v58, v60
	;; [unrolled: 1-line block ×5, first 2 shown]
	v_sub_f32_e32 v57, v11, v59
	v_add_f32_e32 v11, v109, v110
	v_sub_f32_e32 v59, v58, v60
	v_sub_f32_e32 v19, v19, v61
	;; [unrolled: 1-line block ×3, first 2 shown]
	v_add_f32_e32 v61, v6, v109
	v_sub_f32_e32 v60, v63, v65
	v_add_f32_e32 v63, v105, v112
	v_add_f32_e32 v64, v102, v111
	v_fmac_f32_e32 v66, 0xbf5db3d7, v98
	v_fma_f32 v6, -0.5, v11, v6
	v_sub_f32_e32 v11, v108, v106
	v_add_f32_e32 v65, v61, v110
	v_add_f32_e32 v61, v7, v108
	;; [unrolled: 1-line block ×3, first 2 shown]
	v_fmac_f32_e32 v9, -0.5, v63
	v_sub_f32_e32 v63, v102, v111
	v_add_f32_e32 v68, v10, v102
	v_fmac_f32_e32 v10, -0.5, v64
	v_sub_f32_e32 v64, v105, v112
	v_add_f32_e32 v56, v20, v66
	v_sub_f32_e32 v20, v20, v66
	v_fmamk_f32 v66, v11, 0x3f5db3d7, v6
	v_fmac_f32_e32 v6, 0xbf5db3d7, v11
	v_add_f32_e32 v69, v61, v106
	v_fmamk_f32 v11, v63, 0x3f5db3d7, v9
	v_fmamk_f32 v61, v64, 0xbf5db3d7, v10
	v_fmac_f32_e32 v9, 0xbf5db3d7, v63
	v_add_f32_e32 v62, v108, v106
	v_fmac_f32_e32 v10, 0x3f5db3d7, v64
	v_add_f32_e32 v67, v67, v112
	v_mul_f32_e32 v71, 0x3f5db3d7, v61
	v_mul_f32_e32 v72, -0.5, v9
	v_fmac_f32_e32 v7, -0.5, v62
	v_sub_f32_e32 v62, v109, v110
	v_add_f32_e32 v68, v68, v111
	v_mul_f32_e32 v73, 0xbf5db3d7, v11
	v_mul_f32_e32 v74, -0.5, v10
	v_fmac_f32_e32 v71, 0.5, v11
	v_fmac_f32_e32 v72, 0x3f5db3d7, v10
	v_fmamk_f32 v70, v62, 0xbf5db3d7, v7
	v_add_f32_e32 v10, v65, v67
	v_fmac_f32_e32 v73, 0.5, v61
	v_fmac_f32_e32 v74, 0xbf5db3d7, v9
	v_add_f32_e32 v61, v66, v71
	v_add_f32_e32 v63, v6, v72
	;; [unrolled: 1-line block ×3, first 2 shown]
	v_sub_f32_e32 v65, v65, v67
	v_add_f32_e32 v9, v100, v114
	v_sub_f32_e32 v67, v66, v71
	v_sub_f32_e32 v6, v6, v72
	v_sub_f32_e32 v66, v69, v68
	v_add_f32_e32 v69, v0, v100
	v_add_f32_e32 v71, v113, v116
	;; [unrolled: 1-line block ×3, first 2 shown]
	v_fmac_f32_e32 v7, 0x3f5db3d7, v62
	v_add_f32_e32 v62, v70, v73
	v_fma_f32 v0, -0.5, v9, v0
	v_sub_f32_e32 v9, v99, v104
	v_sub_f32_e32 v68, v70, v73
	v_add_f32_e32 v73, v69, v114
	v_add_f32_e32 v69, v1, v99
	;; [unrolled: 1-line block ×3, first 2 shown]
	v_fmac_f32_e32 v3, -0.5, v71
	v_sub_f32_e32 v71, v103, v115
	v_add_f32_e32 v76, v2, v103
	v_fmac_f32_e32 v2, -0.5, v72
	v_sub_f32_e32 v72, v113, v116
	v_add_f32_e32 v64, v7, v74
	v_sub_f32_e32 v7, v7, v74
	v_add_f32_e32 v70, v99, v104
	v_fmamk_f32 v74, v9, 0x3f5db3d7, v0
	v_fmac_f32_e32 v0, 0xbf5db3d7, v9
	v_add_f32_e32 v9, v69, v104
	v_fmamk_f32 v69, v71, 0x3f5db3d7, v3
	v_fmamk_f32 v78, v72, 0xbf5db3d7, v2
	v_fmac_f32_e32 v3, 0xbf5db3d7, v71
	v_fmac_f32_e32 v2, 0x3f5db3d7, v72
	v_fmac_f32_e32 v1, -0.5, v70
	v_sub_f32_e32 v70, v100, v114
	v_mul_f32_e32 v79, 0x3f5db3d7, v78
	v_mul_f32_e32 v95, 0xbf5db3d7, v69
	v_mul_f32_e32 v94, -0.5, v3
	v_mul_f32_e32 v96, -0.5, v2
	v_fmamk_f32 v77, v70, 0xbf5db3d7, v1
	v_fmac_f32_e32 v79, 0.5, v69
	v_fmac_f32_e32 v95, 0.5, v78
	v_fmac_f32_e32 v1, 0x3f5db3d7, v70
	v_fmac_f32_e32 v94, 0x3f5db3d7, v2
	;; [unrolled: 1-line block ×3, first 2 shown]
	v_add_f32_e32 v75, v75, v116
	v_add_f32_e32 v76, v76, v115
	;; [unrolled: 1-line block ×7, first 2 shown]
	v_sub_f32_e32 v73, v73, v75
	v_sub_f32_e32 v75, v74, v79
	;; [unrolled: 1-line block ×3, first 2 shown]
	v_add_f32_e32 v3, v9, v76
	v_sub_f32_e32 v76, v77, v95
	v_sub_f32_e32 v0, v0, v94
	;; [unrolled: 1-line block ×3, first 2 shown]
	s_barrier
	buffer_gl0_inv
	ds_write_b64 v93, v[4:5]
	ds_write_b64 v93, v[21:22] offset:2880
	ds_write_b64 v93, v[23:24] offset:5760
	ds_write_b64 v93, v[25:26] offset:8640
	ds_write_b64 v93, v[27:28] offset:11520
	ds_write_b64 v93, v[29:30] offset:14400
	ds_write_b64 v14, v[31:32]
	ds_write_b64 v14, v[33:34] offset:2880
	ds_write_b64 v14, v[35:36] offset:5760
	ds_write_b64 v14, v[37:38] offset:8640
	ds_write_b64 v14, v[39:40] offset:11520
	ds_write_b64 v14, v[15:16] offset:14400
	;; [unrolled: 6-line block ×4, first 2 shown]
	ds_write2_b64 v92, v[10:11], v[2:3] offset0:112 offset1:172
	v_add_nc_u32_e32 v2, 0x3c00, v93
	ds_write2_b64 v85, v[61:62], v[69:70] offset0:88 offset1:148
	ds_write2_b64 v81, v[63:64], v[71:72] offset0:192 offset1:252
	;; [unrolled: 1-line block ×5, first 2 shown]
	s_waitcnt lgkmcnt(0)
	s_barrier
	buffer_gl0_inv
	ds_read_b64 v[4:5], v93
	v_lshlrev_b32_e32 v0, 3, v80
                                        ; implicit-def: $vgpr3
                                        ; implicit-def: $vgpr7
	v_sub_nc_u32_e32 v6, 0, v0
                                        ; implicit-def: $vgpr0_vgpr1
	v_cmpx_ne_u32_e32 0, v80
	s_xor_b32 s5, exec_lo, s5
	s_cbranch_execz .LBB0_17
; %bb.16:
	v_mov_b32_e32 v81, v8
	ds_read_b64 v[2:3], v6 offset:17280
	v_lshlrev_b64 v[0:1], 3, v[80:81]
	v_add_co_u32 v0, s0, s1, v0
	v_add_co_ci_u32_e64 v1, s0, s4, v1, s0
	global_load_dwordx2 v[0:1], v[0:1], off
	s_waitcnt lgkmcnt(0)
	v_sub_f32_e32 v7, v4, v2
	v_add_f32_e32 v8, v3, v5
	v_sub_f32_e32 v3, v5, v3
	v_add_f32_e32 v2, v2, v4
	v_mul_f32_e32 v5, 0.5, v7
	v_mul_f32_e32 v4, 0.5, v8
	;; [unrolled: 1-line block ×3, first 2 shown]
	s_waitcnt vmcnt(0)
	v_mul_f32_e32 v7, v1, v5
	v_fma_f32 v8, v4, v1, v3
	v_fma_f32 v1, v4, v1, -v3
	v_fma_f32 v9, 0.5, v2, v7
	v_fma_f32 v2, v2, 0.5, -v7
	v_fma_f32 v7, -v0, v5, v8
	v_fma_f32 v3, -v0, v5, v1
	v_fmac_f32_e32 v9, v0, v4
	v_fma_f32 v2, -v0, v4, v2
	v_mov_b32_e32 v0, v80
	v_mov_b32_e32 v1, v81
                                        ; implicit-def: $vgpr4_vgpr5
	ds_write_b32 v93, v9
.LBB0_17:
	s_andn2_saveexec_b32 s0, s5
	s_cbranch_execz .LBB0_19
; %bb.18:
	v_mov_b32_e32 v7, 0
	s_waitcnt lgkmcnt(0)
	v_add_f32_e32 v8, v4, v5
	v_sub_f32_e32 v2, v4, v5
	ds_read_b32 v0, v7 offset:8644
	v_mov_b32_e32 v3, v7
	s_waitcnt lgkmcnt(0)
	v_xor_b32_e32 v4, 0x80000000, v0
	v_mov_b32_e32 v0, 0
	v_mov_b32_e32 v1, 0
	ds_write_b32 v93, v8
	ds_write_b32 v7, v4 offset:8644
.LBB0_19:
	s_or_b32 exec_lo, exec_lo, s0
	v_mov_b32_e32 v83, 0
	v_lshlrev_b64 v[0:1], 3, v[0:1]
	s_waitcnt lgkmcnt(0)
	v_lshlrev_b64 v[4:5], 3, v[82:83]
	v_mov_b32_e32 v92, v83
	v_mov_b32_e32 v89, v83
	v_lshlrev_b64 v[8:9], 3, v[91:92]
	v_add_co_u32 v4, s0, s1, v4
	v_add_co_ci_u32_e64 v5, s0, s4, v5, s0
	v_mov_b32_e32 v91, v83
	v_add_co_u32 v8, s0, s1, v8
	global_load_dwordx2 v[4:5], v[4:5], off
	v_add_co_ci_u32_e64 v9, s0, s4, v9, s0
	v_lshlrev_b64 v[10:11], 3, v[90:91]
	global_load_dwordx2 v[8:9], v[8:9], off
	v_add_co_u32 v10, s0, s1, v10
	v_add_co_ci_u32_e64 v11, s0, s4, v11, s0
	v_add_co_u32 v15, s0, s1, v0
	v_add_co_ci_u32_e64 v16, s0, s4, v1, s0
	global_load_dwordx2 v[10:11], v[10:11], off
	v_add_co_u32 v19, s0, 0x800, v15
	global_load_dwordx2 v[17:18], v[15:16], off offset:1920
	v_add_co_ci_u32_e64 v20, s0, 0, v16, s0
	s_clause 0x1
	global_load_dwordx2 v[21:22], v[19:20], off offset:352
	global_load_dwordx2 v[23:24], v[19:20], off offset:832
	ds_write_b32 v93, v7 offset:4
	ds_write_b64 v6, v[2:3] offset:17280
	ds_read_b64 v[2:3], v14
	ds_read_b64 v[25:26], v6 offset:16800
	global_load_dwordx2 v[27:28], v[19:20], off offset:1312
	s_waitcnt lgkmcnt(0)
	v_sub_f32_e32 v7, v2, v25
	v_add_f32_e32 v29, v3, v26
	v_sub_f32_e32 v3, v3, v26
	v_add_f32_e32 v25, v2, v25
	v_mul_f32_e32 v7, 0.5, v7
	v_mul_f32_e32 v26, 0.5, v29
	;; [unrolled: 1-line block ×3, first 2 shown]
	s_waitcnt vmcnt(6)
	v_mul_f32_e32 v29, v5, v7
	v_fma_f32 v30, v26, v5, v3
	v_fma_f32 v5, v26, v5, -v3
	v_fma_f32 v2, 0.5, v25, v29
	v_fma_f32 v25, v25, 0.5, -v29
	v_fma_f32 v3, -v4, v7, v30
	v_fma_f32 v5, -v4, v7, v5
	v_fmac_f32_e32 v2, v4, v26
	v_fma_f32 v4, -v4, v26, v25
	ds_write_b64 v14, v[2:3]
	ds_write_b64 v6, v[4:5] offset:16800
	ds_read_b64 v[2:3], v13
	ds_read_b64 v[4:5], v6 offset:16320
	global_load_dwordx2 v[19:20], v[19:20], off offset:1792
	s_waitcnt lgkmcnt(0)
	v_sub_f32_e32 v7, v2, v4
	v_add_f32_e32 v14, v3, v5
	v_sub_f32_e32 v3, v3, v5
	v_add_f32_e32 v4, v2, v4
	v_mul_f32_e32 v7, 0.5, v7
	v_mul_f32_e32 v14, 0.5, v14
	;; [unrolled: 1-line block ×3, first 2 shown]
	s_waitcnt vmcnt(6)
	v_mul_f32_e32 v5, v9, v7
	v_fma_f32 v25, v14, v9, v3
	v_fma_f32 v9, v14, v9, -v3
	v_fma_f32 v2, 0.5, v4, v5
	v_fma_f32 v26, v4, 0.5, -v5
	v_add_co_u32 v4, s0, 0x1000, v15
	v_add_co_ci_u32_e64 v5, s0, 0, v16, s0
	v_fma_f32 v3, -v8, v7, v25
	v_fma_f32 v9, -v8, v7, v9
	v_fmac_f32_e32 v2, v8, v14
	v_fma_f32 v8, -v8, v14, v26
	global_load_dwordx2 v[25:26], v[4:5], off offset:224
	ds_write_b64 v13, v[2:3]
	ds_write_b64 v6, v[8:9] offset:16320
	ds_read_b64 v[2:3], v12
	ds_read_b64 v[7:8], v6 offset:15840
	s_waitcnt lgkmcnt(0)
	v_sub_f32_e32 v9, v2, v7
	v_add_f32_e32 v13, v3, v8
	v_sub_f32_e32 v3, v3, v8
	v_add_f32_e32 v7, v2, v7
	v_mul_f32_e32 v8, 0.5, v9
	v_mul_f32_e32 v9, 0.5, v13
	;; [unrolled: 1-line block ×3, first 2 shown]
	s_waitcnt vmcnt(6)
	v_mul_f32_e32 v13, v11, v8
	v_fma_f32 v14, v9, v11, v3
	v_fma_f32 v11, v9, v11, -v3
	v_fma_f32 v2, 0.5, v7, v13
	v_fma_f32 v7, v7, 0.5, -v13
	v_fma_f32 v3, -v10, v8, v14
	v_fma_f32 v8, -v10, v8, v11
	v_fmac_f32_e32 v2, v10, v9
	v_fma_f32 v7, -v10, v9, v7
	ds_write_b64 v12, v[2:3]
	ds_write_b64 v6, v[7:8] offset:15840
	ds_read_b64 v[2:3], v93 offset:1920
	ds_read_b64 v[7:8], v6 offset:15360
	global_load_dwordx2 v[9:10], v[4:5], off offset:704
	s_waitcnt lgkmcnt(0)
	v_sub_f32_e32 v11, v2, v7
	v_add_f32_e32 v12, v3, v8
	v_sub_f32_e32 v3, v3, v8
	v_add_f32_e32 v7, v2, v7
	v_mul_f32_e32 v8, 0.5, v11
	v_mul_f32_e32 v11, 0.5, v12
	;; [unrolled: 1-line block ×3, first 2 shown]
	s_waitcnt vmcnt(6)
	v_mul_f32_e32 v12, v18, v8
	v_fma_f32 v13, v11, v18, v3
	v_fma_f32 v14, v11, v18, -v3
	v_fma_f32 v2, 0.5, v7, v12
	v_fma_f32 v7, v7, 0.5, -v12
	v_fma_f32 v3, -v17, v8, v13
	v_fma_f32 v8, -v17, v8, v14
	v_fmac_f32_e32 v2, v17, v11
	v_fma_f32 v7, -v17, v11, v7
	ds_write_b64 v93, v[2:3] offset:1920
	ds_write_b64 v6, v[7:8] offset:15360
	ds_read_b64 v[2:3], v93 offset:2400
	ds_read_b64 v[7:8], v6 offset:14880
	global_load_dwordx2 v[11:12], v[4:5], off offset:1184
	s_waitcnt lgkmcnt(0)
	v_sub_f32_e32 v13, v2, v7
	v_add_f32_e32 v14, v3, v8
	v_sub_f32_e32 v3, v3, v8
	v_add_f32_e32 v7, v2, v7
	v_mul_f32_e32 v8, 0.5, v13
	v_mul_f32_e32 v13, 0.5, v14
	;; [unrolled: 1-line block ×3, first 2 shown]
	s_waitcnt vmcnt(6)
	v_mul_f32_e32 v14, v22, v8
	v_fma_f32 v17, v13, v22, v3
	v_fma_f32 v18, v13, v22, -v3
	v_fma_f32 v2, 0.5, v7, v14
	v_fma_f32 v7, v7, 0.5, -v14
	v_fma_f32 v3, -v21, v8, v17
	v_fma_f32 v8, -v21, v8, v18
	v_fmac_f32_e32 v2, v21, v13
	v_fma_f32 v7, -v21, v13, v7
	ds_write_b64 v93, v[2:3] offset:2400
	ds_write_b64 v6, v[7:8] offset:14880
	ds_read_b64 v[2:3], v93 offset:2880
	ds_read_b64 v[7:8], v6 offset:14400
	global_load_dwordx2 v[4:5], v[4:5], off offset:1664
	s_waitcnt lgkmcnt(0)
	v_sub_f32_e32 v13, v2, v7
	v_add_f32_e32 v14, v3, v8
	v_sub_f32_e32 v3, v3, v8
	v_add_f32_e32 v7, v2, v7
	v_mul_f32_e32 v8, 0.5, v13
	v_mul_f32_e32 v13, 0.5, v14
	;; [unrolled: 1-line block ×3, first 2 shown]
	s_waitcnt vmcnt(6)
	v_mul_f32_e32 v14, v24, v8
	v_fma_f32 v17, v13, v24, v3
	v_fma_f32 v18, v13, v24, -v3
	v_fma_f32 v2, 0.5, v7, v14
	v_fma_f32 v7, v7, 0.5, -v14
	v_fma_f32 v3, -v23, v8, v17
	v_fma_f32 v8, -v23, v8, v18
	v_fmac_f32_e32 v2, v23, v13
	v_fma_f32 v7, -v23, v13, v7
	v_add_co_u32 v13, s0, 0x1800, v15
	v_add_co_ci_u32_e64 v14, s0, 0, v16, s0
	ds_write_b64 v93, v[2:3] offset:2880
	ds_write_b64 v6, v[7:8] offset:14400
	ds_read_b64 v[2:3], v93 offset:3360
	ds_read_b64 v[7:8], v6 offset:13920
	global_load_dwordx2 v[15:16], v[13:14], off offset:96
	s_waitcnt lgkmcnt(0)
	v_sub_f32_e32 v17, v2, v7
	v_add_f32_e32 v18, v3, v8
	v_sub_f32_e32 v3, v3, v8
	v_add_f32_e32 v7, v2, v7
	v_mul_f32_e32 v8, 0.5, v17
	v_mul_f32_e32 v17, 0.5, v18
	;; [unrolled: 1-line block ×3, first 2 shown]
	s_waitcnt vmcnt(6)
	v_mul_f32_e32 v18, v28, v8
	v_fma_f32 v21, v17, v28, v3
	v_fma_f32 v22, v17, v28, -v3
	v_fma_f32 v2, 0.5, v7, v18
	v_fma_f32 v7, v7, 0.5, -v18
	v_fma_f32 v3, -v27, v8, v21
	v_fma_f32 v8, -v27, v8, v22
	v_fmac_f32_e32 v2, v27, v17
	v_fma_f32 v7, -v27, v17, v7
	ds_write_b64 v93, v[2:3] offset:3360
	ds_write_b64 v6, v[7:8] offset:13920
	ds_read_b64 v[2:3], v93 offset:3840
	ds_read_b64 v[7:8], v6 offset:13440
	global_load_dwordx2 v[17:18], v[13:14], off offset:576
	s_waitcnt lgkmcnt(0)
	v_sub_f32_e32 v21, v2, v7
	v_add_f32_e32 v22, v3, v8
	v_sub_f32_e32 v3, v3, v8
	v_add_f32_e32 v7, v2, v7
	v_mul_f32_e32 v8, 0.5, v21
	v_mul_f32_e32 v21, 0.5, v22
	;; [unrolled: 1-line block ×3, first 2 shown]
	s_waitcnt vmcnt(6)
	v_mul_f32_e32 v22, v20, v8
	v_fma_f32 v23, v21, v20, v3
	v_fma_f32 v20, v21, v20, -v3
	v_fma_f32 v2, 0.5, v7, v22
	v_fma_f32 v7, v7, 0.5, -v22
	v_fma_f32 v3, -v19, v8, v23
	v_fma_f32 v8, -v19, v8, v20
	v_fmac_f32_e32 v2, v19, v21
	v_fma_f32 v7, -v19, v21, v7
	ds_write_b64 v93, v[2:3] offset:3840
	ds_write_b64 v6, v[7:8] offset:13440
	ds_read_b64 v[2:3], v93 offset:4320
	ds_read_b64 v[7:8], v6 offset:12960
	global_load_dwordx2 v[19:20], v[13:14], off offset:1056
	s_waitcnt lgkmcnt(0)
	v_sub_f32_e32 v21, v2, v7
	v_add_f32_e32 v22, v3, v8
	v_sub_f32_e32 v3, v3, v8
	v_mul_f32_e32 v23, 0.5, v21
	v_add_f32_e32 v21, v2, v7
	v_mul_f32_e32 v8, 0.5, v3
	v_lshlrev_b64 v[2:3], 3, v[88:89]
	v_mul_f32_e32 v27, 0.5, v22
	s_waitcnt vmcnt(6)
	v_mul_f32_e32 v22, v26, v23
	v_fma_f32 v24, v27, v26, v8
	v_fma_f32 v7, 0.5, v21, v22
	v_fma_f32 v28, v21, 0.5, -v22
	v_add_co_u32 v21, s0, s1, v2
	v_add_co_ci_u32_e64 v22, s0, s4, v3, s0
	v_fma_f32 v26, v27, v26, -v8
	v_fma_f32 v8, -v25, v23, v24
	v_fmac_f32_e32 v7, v25, v27
	global_load_dwordx2 v[21:22], v[21:22], off
	v_fma_f32 v24, -v25, v23, v26
	v_fma_f32 v23, -v25, v27, v28
	ds_write_b64 v93, v[7:8] offset:4320
	ds_write_b64 v6, v[23:24] offset:12960
	ds_read_b64 v[7:8], v93 offset:4800
	ds_read_b64 v[23:24], v6 offset:12480
	global_load_dwordx2 v[13:14], v[13:14], off offset:2016
	s_waitcnt lgkmcnt(0)
	v_sub_f32_e32 v25, v7, v23
	v_add_f32_e32 v26, v8, v24
	v_sub_f32_e32 v8, v8, v24
	v_add_f32_e32 v23, v7, v23
	v_mul_f32_e32 v24, 0.5, v25
	v_mul_f32_e32 v25, 0.5, v26
	v_mul_f32_e32 v8, 0.5, v8
	s_waitcnt vmcnt(7)
	v_mul_f32_e32 v26, v10, v24
	v_fma_f32 v27, v25, v10, v8
	v_fma_f32 v10, v25, v10, -v8
	v_fma_f32 v7, 0.5, v23, v26
	v_fma_f32 v23, v23, 0.5, -v26
	v_fma_f32 v8, -v9, v24, v27
	v_fma_f32 v10, -v9, v24, v10
	v_fmac_f32_e32 v7, v9, v25
	v_fma_f32 v9, -v9, v25, v23
	ds_write_b64 v93, v[7:8] offset:4800
	ds_write_b64 v6, v[9:10] offset:12480
	ds_read_b64 v[7:8], v93 offset:5280
	ds_read_b64 v[9:10], v6 offset:12000
	s_waitcnt lgkmcnt(0)
	v_sub_f32_e32 v23, v7, v9
	v_add_f32_e32 v24, v8, v10
	v_sub_f32_e32 v8, v8, v10
	v_add_f32_e32 v9, v7, v9
	v_mul_f32_e32 v10, 0.5, v23
	v_mul_f32_e32 v23, 0.5, v24
	v_mul_f32_e32 v8, 0.5, v8
	s_waitcnt vmcnt(6)
	v_mul_f32_e32 v24, v12, v10
	v_fma_f32 v25, v23, v12, v8
	v_fma_f32 v12, v23, v12, -v8
	v_fma_f32 v7, 0.5, v9, v24
	v_fma_f32 v9, v9, 0.5, -v24
	v_fma_f32 v8, -v11, v10, v25
	v_fma_f32 v10, -v11, v10, v12
	v_fmac_f32_e32 v7, v11, v23
	v_fma_f32 v9, -v11, v23, v9
	ds_write_b64 v93, v[7:8] offset:5280
	ds_write_b64 v6, v[9:10] offset:12000
	ds_read_b64 v[7:8], v93 offset:5760
	ds_read_b64 v[9:10], v6 offset:11520
	;; [unrolled: 22-line block ×7, first 2 shown]
	s_waitcnt lgkmcnt(0)
	v_sub_f32_e32 v9, v4, v7
	v_add_f32_e32 v10, v5, v8
	v_sub_f32_e32 v5, v5, v8
	v_add_f32_e32 v7, v4, v7
	v_mul_f32_e32 v8, 0.5, v9
	v_mul_f32_e32 v9, 0.5, v10
	v_mul_f32_e32 v5, 0.5, v5
	s_waitcnt vmcnt(0)
	v_mul_f32_e32 v10, v14, v8
	v_fma_f32 v11, v9, v14, v5
	v_fma_f32 v12, v9, v14, -v5
	v_fma_f32 v4, 0.5, v7, v10
	v_fma_f32 v7, v7, 0.5, -v10
	v_fma_f32 v5, -v13, v8, v11
	v_fma_f32 v8, -v13, v8, v12
	v_fmac_f32_e32 v4, v13, v9
	v_fma_f32 v7, -v13, v9, v7
	ds_write_b64 v93, v[4:5] offset:8160
	ds_write_b64 v6, v[7:8] offset:9120
	s_waitcnt lgkmcnt(0)
	s_barrier
	buffer_gl0_inv
	s_and_saveexec_b32 s0, vcc_lo
	s_cbranch_execz .LBB0_22
; %bb.20:
	v_add_nc_u32_e32 v4, 0x400, v93
	v_add_nc_u32_e32 v18, 0x800, v93
	;; [unrolled: 1-line block ×3, first 2 shown]
	ds_read2_b64 v[6:9], v93 offset1:60
	ds_read2_b64 v[10:13], v93 offset0:120 offset1:180
	ds_read2_b64 v[14:17], v4 offset0:112 offset1:172
	v_add_nc_u32_e32 v26, 0x1000, v93
	v_add_co_u32 v4, vcc_lo, s2, v86
	ds_read2_b64 v[18:21], v18 offset0:104 offset1:164
	ds_read2_b64 v[22:25], v22 offset0:96 offset1:156
	;; [unrolled: 1-line block ×3, first 2 shown]
	v_add_co_ci_u32_e32 v5, vcc_lo, s3, v87, vcc_lo
	v_add_co_u32 v30, vcc_lo, v4, v0
	v_add_nc_u32_e32 v32, 0x1400, v93
	v_add_co_ci_u32_e32 v31, vcc_lo, v5, v1, vcc_lo
	v_add_nc_u32_e32 v34, 0x1800, v93
	v_add_co_u32 v0, vcc_lo, 0x800, v30
	v_add_co_ci_u32_e32 v1, vcc_lo, 0, v31, vcc_lo
	v_mov_b32_e32 v85, v83
	s_waitcnt lgkmcnt(5)
	global_store_dwordx2 v[30:31], v[6:7], off
	global_store_dwordx2 v[30:31], v[8:9], off offset:480
	s_waitcnt lgkmcnt(4)
	global_store_dwordx2 v[30:31], v[10:11], off offset:960
	global_store_dwordx2 v[30:31], v[12:13], off offset:1440
	s_waitcnt lgkmcnt(3)
	global_store_dwordx2 v[30:31], v[14:15], off offset:1920
	ds_read2_b64 v[6:9], v32 offset0:80 offset1:140
	ds_read2_b64 v[10:13], v34 offset0:72 offset1:132
	v_add_co_u32 v32, vcc_lo, 0x1000, v30
	v_add_co_ci_u32_e32 v33, vcc_lo, 0, v31, vcc_lo
	global_store_dwordx2 v[0:1], v[16:17], off offset:352
	s_waitcnt lgkmcnt(4)
	global_store_dwordx2 v[0:1], v[18:19], off offset:832
	global_store_dwordx2 v[0:1], v[20:21], off offset:1312
	s_waitcnt lgkmcnt(3)
	global_store_dwordx2 v[0:1], v[22:23], off offset:1792
	;; [unrolled: 3-line block ×3, first 2 shown]
	v_add_nc_u32_e32 v0, 0x2000, v93
	ds_read2_b64 v[14:17], v34 offset0:192 offset1:252
	v_add_co_u32 v22, vcc_lo, 0x1800, v30
	v_add_co_ci_u32_e32 v23, vcc_lo, 0, v31, vcc_lo
	ds_read2_b64 v[18:21], v0 offset0:56 offset1:116
	v_add_nc_u32_e32 v26, 0x2800, v93
	global_store_dwordx2 v[32:33], v[28:29], off offset:1184
	v_add_nc_u32_e32 v27, 0x3000, v93
	s_waitcnt lgkmcnt(3)
	global_store_dwordx2 v[32:33], v[6:7], off offset:1664
	global_store_dwordx2 v[22:23], v[8:9], off offset:96
	s_waitcnt lgkmcnt(2)
	global_store_dwordx2 v[22:23], v[10:11], off offset:576
	global_store_dwordx2 v[22:23], v[12:13], off offset:1056
	ds_read2_b64 v[6:9], v0 offset0:176 offset1:236
	ds_read2_b64 v[10:13], v26 offset0:40 offset1:100
	v_add_co_u32 v0, vcc_lo, v4, v2
	v_add_co_ci_u32_e32 v1, vcc_lo, v5, v3, vcc_lo
	v_add_co_u32 v24, vcc_lo, 0x2000, v30
	v_add_co_ci_u32_e32 v25, vcc_lo, 0, v31, vcc_lo
	s_waitcnt lgkmcnt(3)
	global_store_dwordx2 v[0:1], v[14:15], off
	ds_read2_b64 v[0:3], v26 offset0:160 offset1:220
	global_store_dwordx2 v[22:23], v[16:17], off offset:2016
	s_waitcnt lgkmcnt(3)
	global_store_dwordx2 v[24:25], v[18:19], off offset:448
	ds_read2_b64 v[14:17], v27 offset0:24 offset1:84
	v_add_co_u32 v22, vcc_lo, 0x2800, v30
	v_add_co_ci_u32_e32 v23, vcc_lo, 0, v31, vcc_lo
	v_add_nc_u32_e32 v26, 0x3800, v93
	global_store_dwordx2 v[24:25], v[20:21], off offset:928
	s_waitcnt lgkmcnt(3)
	global_store_dwordx2 v[24:25], v[6:7], off offset:1408
	global_store_dwordx2 v[24:25], v[8:9], off offset:1888
	s_waitcnt lgkmcnt(2)
	global_store_dwordx2 v[22:23], v[10:11], off offset:320
	ds_read2_b64 v[6:9], v27 offset0:144 offset1:204
	ds_read2_b64 v[18:21], v26 offset0:8 offset1:68
	v_add_co_u32 v24, vcc_lo, 0x3000, v30
	v_add_co_ci_u32_e32 v25, vcc_lo, 0, v31, vcc_lo
	v_add_nc_u32_e32 v10, 0x3c00, v93
	global_store_dwordx2 v[22:23], v[12:13], off offset:800
	s_waitcnt lgkmcnt(3)
	global_store_dwordx2 v[22:23], v[0:1], off offset:1280
	global_store_dwordx2 v[22:23], v[2:3], off offset:1760
	s_waitcnt lgkmcnt(2)
	global_store_dwordx2 v[24:25], v[14:15], off offset:192
	ds_read2_b64 v[0:3], v26 offset0:128 offset1:188
	ds_read2_b64 v[10:13], v10 offset0:120 offset1:180
	global_store_dwordx2 v[24:25], v[16:17], off offset:672
	v_lshlrev_b64 v[16:17], 3, v[84:85]
	v_add_co_u32 v14, vcc_lo, 0x3800, v30
	v_add_co_ci_u32_e32 v15, vcc_lo, 0, v31, vcc_lo
	s_waitcnt lgkmcnt(3)
	global_store_dwordx2 v[24:25], v[6:7], off offset:1152
	global_store_dwordx2 v[24:25], v[8:9], off offset:1632
	s_waitcnt lgkmcnt(2)
	global_store_dwordx2 v[14:15], v[18:19], off offset:64
	global_store_dwordx2 v[14:15], v[20:21], off offset:544
	v_add_co_u32 v6, vcc_lo, v4, v16
	v_add_co_ci_u32_e32 v7, vcc_lo, v5, v17, vcc_lo
	v_add_co_u32 v8, vcc_lo, 0x4000, v30
	v_add_co_ci_u32_e32 v9, vcc_lo, 0, v31, vcc_lo
	v_cmp_eq_u32_e32 vcc_lo, 59, v80
	s_waitcnt lgkmcnt(1)
	global_store_dwordx2 v[6:7], v[0:1], off
	global_store_dwordx2 v[14:15], v[2:3], off offset:1504
	s_waitcnt lgkmcnt(0)
	global_store_dwordx2 v[14:15], v[10:11], off offset:1984
	global_store_dwordx2 v[8:9], v[12:13], off offset:416
	s_and_b32 exec_lo, exec_lo, vcc_lo
	s_cbranch_execz .LBB0_22
; %bb.21:
	v_mov_b32_e32 v0, 0
	v_add_co_u32 v2, vcc_lo, 0x4000, v4
	v_add_co_ci_u32_e32 v3, vcc_lo, 0, v5, vcc_lo
	ds_read_b64 v[0:1], v0 offset:17280
	s_waitcnt lgkmcnt(0)
	global_store_dwordx2 v[2:3], v[0:1], off offset:896
.LBB0_22:
	s_endpgm
	.section	.rodata,"a",@progbits
	.p2align	6, 0x0
	.amdhsa_kernel fft_rtc_fwd_len2160_factors_10_6_6_6_wgs_60_tpt_60_halfLds_sp_ip_CI_unitstride_sbrr_R2C_dirReg
		.amdhsa_group_segment_fixed_size 0
		.amdhsa_private_segment_fixed_size 0
		.amdhsa_kernarg_size 88
		.amdhsa_user_sgpr_count 6
		.amdhsa_user_sgpr_private_segment_buffer 1
		.amdhsa_user_sgpr_dispatch_ptr 0
		.amdhsa_user_sgpr_queue_ptr 0
		.amdhsa_user_sgpr_kernarg_segment_ptr 1
		.amdhsa_user_sgpr_dispatch_id 0
		.amdhsa_user_sgpr_flat_scratch_init 0
		.amdhsa_user_sgpr_private_segment_size 0
		.amdhsa_wavefront_size32 1
		.amdhsa_uses_dynamic_stack 0
		.amdhsa_system_sgpr_private_segment_wavefront_offset 0
		.amdhsa_system_sgpr_workgroup_id_x 1
		.amdhsa_system_sgpr_workgroup_id_y 0
		.amdhsa_system_sgpr_workgroup_id_z 0
		.amdhsa_system_sgpr_workgroup_info 0
		.amdhsa_system_vgpr_workitem_id 0
		.amdhsa_next_free_vgpr 137
		.amdhsa_next_free_sgpr 21
		.amdhsa_reserve_vcc 1
		.amdhsa_reserve_flat_scratch 0
		.amdhsa_float_round_mode_32 0
		.amdhsa_float_round_mode_16_64 0
		.amdhsa_float_denorm_mode_32 3
		.amdhsa_float_denorm_mode_16_64 3
		.amdhsa_dx10_clamp 1
		.amdhsa_ieee_mode 1
		.amdhsa_fp16_overflow 0
		.amdhsa_workgroup_processor_mode 1
		.amdhsa_memory_ordered 1
		.amdhsa_forward_progress 0
		.amdhsa_shared_vgpr_count 0
		.amdhsa_exception_fp_ieee_invalid_op 0
		.amdhsa_exception_fp_denorm_src 0
		.amdhsa_exception_fp_ieee_div_zero 0
		.amdhsa_exception_fp_ieee_overflow 0
		.amdhsa_exception_fp_ieee_underflow 0
		.amdhsa_exception_fp_ieee_inexact 0
		.amdhsa_exception_int_div_zero 0
	.end_amdhsa_kernel
	.text
.Lfunc_end0:
	.size	fft_rtc_fwd_len2160_factors_10_6_6_6_wgs_60_tpt_60_halfLds_sp_ip_CI_unitstride_sbrr_R2C_dirReg, .Lfunc_end0-fft_rtc_fwd_len2160_factors_10_6_6_6_wgs_60_tpt_60_halfLds_sp_ip_CI_unitstride_sbrr_R2C_dirReg
                                        ; -- End function
	.section	.AMDGPU.csdata,"",@progbits
; Kernel info:
; codeLenInByte = 19176
; NumSgprs: 23
; NumVgprs: 137
; ScratchSize: 0
; MemoryBound: 0
; FloatMode: 240
; IeeeMode: 1
; LDSByteSize: 0 bytes/workgroup (compile time only)
; SGPRBlocks: 2
; VGPRBlocks: 17
; NumSGPRsForWavesPerEU: 23
; NumVGPRsForWavesPerEU: 137
; Occupancy: 7
; WaveLimiterHint : 1
; COMPUTE_PGM_RSRC2:SCRATCH_EN: 0
; COMPUTE_PGM_RSRC2:USER_SGPR: 6
; COMPUTE_PGM_RSRC2:TRAP_HANDLER: 0
; COMPUTE_PGM_RSRC2:TGID_X_EN: 1
; COMPUTE_PGM_RSRC2:TGID_Y_EN: 0
; COMPUTE_PGM_RSRC2:TGID_Z_EN: 0
; COMPUTE_PGM_RSRC2:TIDIG_COMP_CNT: 0
	.text
	.p2alignl 6, 3214868480
	.fill 48, 4, 3214868480
	.type	__hip_cuid_31b9b84931f128a0,@object ; @__hip_cuid_31b9b84931f128a0
	.section	.bss,"aw",@nobits
	.globl	__hip_cuid_31b9b84931f128a0
__hip_cuid_31b9b84931f128a0:
	.byte	0                               ; 0x0
	.size	__hip_cuid_31b9b84931f128a0, 1

	.ident	"AMD clang version 19.0.0git (https://github.com/RadeonOpenCompute/llvm-project roc-6.4.0 25133 c7fe45cf4b819c5991fe208aaa96edf142730f1d)"
	.section	".note.GNU-stack","",@progbits
	.addrsig
	.addrsig_sym __hip_cuid_31b9b84931f128a0
	.amdgpu_metadata
---
amdhsa.kernels:
  - .args:
      - .actual_access:  read_only
        .address_space:  global
        .offset:         0
        .size:           8
        .value_kind:     global_buffer
      - .offset:         8
        .size:           8
        .value_kind:     by_value
      - .actual_access:  read_only
        .address_space:  global
        .offset:         16
        .size:           8
        .value_kind:     global_buffer
      - .actual_access:  read_only
        .address_space:  global
        .offset:         24
        .size:           8
        .value_kind:     global_buffer
      - .offset:         32
        .size:           8
        .value_kind:     by_value
      - .actual_access:  read_only
        .address_space:  global
        .offset:         40
        .size:           8
        .value_kind:     global_buffer
      - .actual_access:  read_only
        .address_space:  global
        .offset:         48
        .size:           8
        .value_kind:     global_buffer
      - .offset:         56
        .size:           4
        .value_kind:     by_value
      - .actual_access:  read_only
        .address_space:  global
        .offset:         64
        .size:           8
        .value_kind:     global_buffer
      - .actual_access:  read_only
        .address_space:  global
        .offset:         72
        .size:           8
        .value_kind:     global_buffer
      - .address_space:  global
        .offset:         80
        .size:           8
        .value_kind:     global_buffer
    .group_segment_fixed_size: 0
    .kernarg_segment_align: 8
    .kernarg_segment_size: 88
    .language:       OpenCL C
    .language_version:
      - 2
      - 0
    .max_flat_workgroup_size: 60
    .name:           fft_rtc_fwd_len2160_factors_10_6_6_6_wgs_60_tpt_60_halfLds_sp_ip_CI_unitstride_sbrr_R2C_dirReg
    .private_segment_fixed_size: 0
    .sgpr_count:     23
    .sgpr_spill_count: 0
    .symbol:         fft_rtc_fwd_len2160_factors_10_6_6_6_wgs_60_tpt_60_halfLds_sp_ip_CI_unitstride_sbrr_R2C_dirReg.kd
    .uniform_work_group_size: 1
    .uses_dynamic_stack: false
    .vgpr_count:     137
    .vgpr_spill_count: 0
    .wavefront_size: 32
    .workgroup_processor_mode: 1
amdhsa.target:   amdgcn-amd-amdhsa--gfx1030
amdhsa.version:
  - 1
  - 2
...

	.end_amdgpu_metadata
